;; amdgpu-corpus repo=ROCm/rocFFT kind=compiled arch=gfx1201 opt=O3
	.text
	.amdgcn_target "amdgcn-amd-amdhsa--gfx1201"
	.amdhsa_code_object_version 6
	.protected	fft_rtc_back_len1280_factors_16_5_16_wgs_80_tpt_80_halfLds_dp_ip_CI_sbrr_dirReg ; -- Begin function fft_rtc_back_len1280_factors_16_5_16_wgs_80_tpt_80_halfLds_dp_ip_CI_sbrr_dirReg
	.globl	fft_rtc_back_len1280_factors_16_5_16_wgs_80_tpt_80_halfLds_dp_ip_CI_sbrr_dirReg
	.p2align	8
	.type	fft_rtc_back_len1280_factors_16_5_16_wgs_80_tpt_80_halfLds_dp_ip_CI_sbrr_dirReg,@function
fft_rtc_back_len1280_factors_16_5_16_wgs_80_tpt_80_halfLds_dp_ip_CI_sbrr_dirReg: ; @fft_rtc_back_len1280_factors_16_5_16_wgs_80_tpt_80_halfLds_dp_ip_CI_sbrr_dirReg
; %bb.0:
	s_clause 0x2
	s_load_b64 s[12:13], s[0:1], 0x18
	s_load_b128 s[4:7], s[0:1], 0x0
	s_load_b64 s[10:11], s[0:1], 0x50
	v_mul_u32_u24_e32 v1, 0x334, v0
	v_mov_b32_e32 v3, 0
	s_delay_alu instid0(VALU_DEP_2) | instskip(NEXT) | instid1(VALU_DEP_1)
	v_lshrrev_b32_e32 v1, 16, v1
	v_add_nc_u32_e32 v5, ttmp9, v1
	v_mov_b32_e32 v1, 0
	v_mov_b32_e32 v2, 0
	;; [unrolled: 1-line block ×3, first 2 shown]
	s_wait_kmcnt 0x0
	s_load_b64 s[8:9], s[12:13], 0x0
	v_cmp_lt_u64_e64 s2, s[6:7], 2
	s_delay_alu instid0(VALU_DEP_1)
	s_and_b32 vcc_lo, exec_lo, s2
	s_cbranch_vccnz .LBB0_8
; %bb.1:
	s_load_b64 s[2:3], s[0:1], 0x10
	v_mov_b32_e32 v1, 0
	v_mov_b32_e32 v2, 0
	s_add_nc_u64 s[14:15], s[12:13], 8
	s_mov_b64 s[16:17], 1
	s_wait_kmcnt 0x0
	s_add_nc_u64 s[18:19], s[2:3], 8
	s_mov_b32 s3, 0
.LBB0_2:                                ; =>This Inner Loop Header: Depth=1
	s_load_b64 s[20:21], s[18:19], 0x0
                                        ; implicit-def: $vgpr7_vgpr8
	s_mov_b32 s2, exec_lo
	s_wait_kmcnt 0x0
	v_or_b32_e32 v4, s21, v6
	s_delay_alu instid0(VALU_DEP_1)
	v_cmpx_ne_u64_e32 0, v[3:4]
	s_wait_alu 0xfffe
	s_xor_b32 s22, exec_lo, s2
	s_cbranch_execz .LBB0_4
; %bb.3:                                ;   in Loop: Header=BB0_2 Depth=1
	s_cvt_f32_u32 s2, s20
	s_cvt_f32_u32 s23, s21
	s_sub_nc_u64 s[26:27], 0, s[20:21]
	s_wait_alu 0xfffe
	s_delay_alu instid0(SALU_CYCLE_1) | instskip(SKIP_1) | instid1(SALU_CYCLE_2)
	s_fmamk_f32 s2, s23, 0x4f800000, s2
	s_wait_alu 0xfffe
	v_s_rcp_f32 s2, s2
	s_delay_alu instid0(TRANS32_DEP_1) | instskip(SKIP_1) | instid1(SALU_CYCLE_2)
	s_mul_f32 s2, s2, 0x5f7ffffc
	s_wait_alu 0xfffe
	s_mul_f32 s23, s2, 0x2f800000
	s_wait_alu 0xfffe
	s_delay_alu instid0(SALU_CYCLE_2) | instskip(SKIP_1) | instid1(SALU_CYCLE_2)
	s_trunc_f32 s23, s23
	s_wait_alu 0xfffe
	s_fmamk_f32 s2, s23, 0xcf800000, s2
	s_cvt_u32_f32 s25, s23
	s_wait_alu 0xfffe
	s_delay_alu instid0(SALU_CYCLE_1) | instskip(SKIP_1) | instid1(SALU_CYCLE_2)
	s_cvt_u32_f32 s24, s2
	s_wait_alu 0xfffe
	s_mul_u64 s[28:29], s[26:27], s[24:25]
	s_wait_alu 0xfffe
	s_mul_hi_u32 s31, s24, s29
	s_mul_i32 s30, s24, s29
	s_mul_hi_u32 s2, s24, s28
	s_mul_i32 s33, s25, s28
	s_wait_alu 0xfffe
	s_add_nc_u64 s[30:31], s[2:3], s[30:31]
	s_mul_hi_u32 s23, s25, s28
	s_mul_hi_u32 s34, s25, s29
	s_add_co_u32 s2, s30, s33
	s_wait_alu 0xfffe
	s_add_co_ci_u32 s2, s31, s23
	s_mul_i32 s28, s25, s29
	s_add_co_ci_u32 s29, s34, 0
	s_wait_alu 0xfffe
	s_add_nc_u64 s[28:29], s[2:3], s[28:29]
	s_wait_alu 0xfffe
	v_add_co_u32 v4, s2, s24, s28
	s_delay_alu instid0(VALU_DEP_1) | instskip(SKIP_1) | instid1(VALU_DEP_1)
	s_cmp_lg_u32 s2, 0
	s_add_co_ci_u32 s25, s25, s29
	v_readfirstlane_b32 s24, v4
	s_wait_alu 0xfffe
	s_delay_alu instid0(VALU_DEP_1)
	s_mul_u64 s[26:27], s[26:27], s[24:25]
	s_wait_alu 0xfffe
	s_mul_hi_u32 s29, s24, s27
	s_mul_i32 s28, s24, s27
	s_mul_hi_u32 s2, s24, s26
	s_mul_i32 s30, s25, s26
	s_wait_alu 0xfffe
	s_add_nc_u64 s[28:29], s[2:3], s[28:29]
	s_mul_hi_u32 s23, s25, s26
	s_mul_hi_u32 s24, s25, s27
	s_wait_alu 0xfffe
	s_add_co_u32 s2, s28, s30
	s_add_co_ci_u32 s2, s29, s23
	s_mul_i32 s26, s25, s27
	s_add_co_ci_u32 s27, s24, 0
	s_wait_alu 0xfffe
	s_add_nc_u64 s[26:27], s[2:3], s[26:27]
	s_wait_alu 0xfffe
	v_add_co_u32 v4, s2, v4, s26
	s_delay_alu instid0(VALU_DEP_1) | instskip(SKIP_1) | instid1(VALU_DEP_1)
	s_cmp_lg_u32 s2, 0
	s_add_co_ci_u32 s2, s25, s27
	v_mul_hi_u32 v13, v5, v4
	s_wait_alu 0xfffe
	v_mad_co_u64_u32 v[7:8], null, v5, s2, 0
	v_mad_co_u64_u32 v[9:10], null, v6, v4, 0
	;; [unrolled: 1-line block ×3, first 2 shown]
	s_delay_alu instid0(VALU_DEP_3) | instskip(SKIP_1) | instid1(VALU_DEP_4)
	v_add_co_u32 v4, vcc_lo, v13, v7
	s_wait_alu 0xfffd
	v_add_co_ci_u32_e32 v7, vcc_lo, 0, v8, vcc_lo
	s_delay_alu instid0(VALU_DEP_2) | instskip(SKIP_1) | instid1(VALU_DEP_2)
	v_add_co_u32 v4, vcc_lo, v4, v9
	s_wait_alu 0xfffd
	v_add_co_ci_u32_e32 v4, vcc_lo, v7, v10, vcc_lo
	s_wait_alu 0xfffd
	v_add_co_ci_u32_e32 v7, vcc_lo, 0, v12, vcc_lo
	s_delay_alu instid0(VALU_DEP_2) | instskip(SKIP_1) | instid1(VALU_DEP_2)
	v_add_co_u32 v4, vcc_lo, v4, v11
	s_wait_alu 0xfffd
	v_add_co_ci_u32_e32 v9, vcc_lo, 0, v7, vcc_lo
	s_delay_alu instid0(VALU_DEP_2) | instskip(SKIP_1) | instid1(VALU_DEP_3)
	v_mul_lo_u32 v10, s21, v4
	v_mad_co_u64_u32 v[7:8], null, s20, v4, 0
	v_mul_lo_u32 v11, s20, v9
	s_delay_alu instid0(VALU_DEP_2) | instskip(NEXT) | instid1(VALU_DEP_2)
	v_sub_co_u32 v7, vcc_lo, v5, v7
	v_add3_u32 v8, v8, v11, v10
	s_delay_alu instid0(VALU_DEP_1) | instskip(SKIP_1) | instid1(VALU_DEP_1)
	v_sub_nc_u32_e32 v10, v6, v8
	s_wait_alu 0xfffd
	v_subrev_co_ci_u32_e64 v10, s2, s21, v10, vcc_lo
	v_add_co_u32 v11, s2, v4, 2
	s_wait_alu 0xf1ff
	v_add_co_ci_u32_e64 v12, s2, 0, v9, s2
	v_sub_co_u32 v13, s2, v7, s20
	v_sub_co_ci_u32_e32 v8, vcc_lo, v6, v8, vcc_lo
	s_wait_alu 0xf1ff
	v_subrev_co_ci_u32_e64 v10, s2, 0, v10, s2
	s_delay_alu instid0(VALU_DEP_3) | instskip(NEXT) | instid1(VALU_DEP_3)
	v_cmp_le_u32_e32 vcc_lo, s20, v13
	v_cmp_eq_u32_e64 s2, s21, v8
	s_wait_alu 0xfffd
	v_cndmask_b32_e64 v13, 0, -1, vcc_lo
	v_cmp_le_u32_e32 vcc_lo, s21, v10
	s_wait_alu 0xfffd
	v_cndmask_b32_e64 v14, 0, -1, vcc_lo
	v_cmp_le_u32_e32 vcc_lo, s20, v7
	;; [unrolled: 3-line block ×3, first 2 shown]
	s_wait_alu 0xfffd
	v_cndmask_b32_e64 v15, 0, -1, vcc_lo
	v_cmp_eq_u32_e32 vcc_lo, s21, v10
	s_wait_alu 0xf1ff
	s_delay_alu instid0(VALU_DEP_2)
	v_cndmask_b32_e64 v7, v15, v7, s2
	s_wait_alu 0xfffd
	v_cndmask_b32_e32 v10, v14, v13, vcc_lo
	v_add_co_u32 v13, vcc_lo, v4, 1
	s_wait_alu 0xfffd
	v_add_co_ci_u32_e32 v14, vcc_lo, 0, v9, vcc_lo
	s_delay_alu instid0(VALU_DEP_3) | instskip(SKIP_2) | instid1(VALU_DEP_3)
	v_cmp_ne_u32_e32 vcc_lo, 0, v10
	s_wait_alu 0xfffd
	v_cndmask_b32_e32 v10, v13, v11, vcc_lo
	v_cndmask_b32_e32 v8, v14, v12, vcc_lo
	v_cmp_ne_u32_e32 vcc_lo, 0, v7
	s_wait_alu 0xfffd
	s_delay_alu instid0(VALU_DEP_2)
	v_dual_cndmask_b32 v7, v4, v10 :: v_dual_cndmask_b32 v8, v9, v8
.LBB0_4:                                ;   in Loop: Header=BB0_2 Depth=1
	s_wait_alu 0xfffe
	s_and_not1_saveexec_b32 s2, s22
	s_cbranch_execz .LBB0_6
; %bb.5:                                ;   in Loop: Header=BB0_2 Depth=1
	v_cvt_f32_u32_e32 v4, s20
	s_sub_co_i32 s22, 0, s20
	s_delay_alu instid0(VALU_DEP_1) | instskip(NEXT) | instid1(TRANS32_DEP_1)
	v_rcp_iflag_f32_e32 v4, v4
	v_mul_f32_e32 v4, 0x4f7ffffe, v4
	s_delay_alu instid0(VALU_DEP_1) | instskip(SKIP_1) | instid1(VALU_DEP_1)
	v_cvt_u32_f32_e32 v4, v4
	s_wait_alu 0xfffe
	v_mul_lo_u32 v7, s22, v4
	s_delay_alu instid0(VALU_DEP_1) | instskip(NEXT) | instid1(VALU_DEP_1)
	v_mul_hi_u32 v7, v4, v7
	v_add_nc_u32_e32 v4, v4, v7
	s_delay_alu instid0(VALU_DEP_1) | instskip(NEXT) | instid1(VALU_DEP_1)
	v_mul_hi_u32 v4, v5, v4
	v_mul_lo_u32 v7, v4, s20
	v_add_nc_u32_e32 v8, 1, v4
	s_delay_alu instid0(VALU_DEP_2) | instskip(NEXT) | instid1(VALU_DEP_1)
	v_sub_nc_u32_e32 v7, v5, v7
	v_subrev_nc_u32_e32 v9, s20, v7
	v_cmp_le_u32_e32 vcc_lo, s20, v7
	s_wait_alu 0xfffd
	s_delay_alu instid0(VALU_DEP_2) | instskip(NEXT) | instid1(VALU_DEP_1)
	v_dual_cndmask_b32 v7, v7, v9 :: v_dual_cndmask_b32 v4, v4, v8
	v_cmp_le_u32_e32 vcc_lo, s20, v7
	s_delay_alu instid0(VALU_DEP_2) | instskip(SKIP_1) | instid1(VALU_DEP_1)
	v_add_nc_u32_e32 v8, 1, v4
	s_wait_alu 0xfffd
	v_dual_cndmask_b32 v7, v4, v8 :: v_dual_mov_b32 v8, v3
.LBB0_6:                                ;   in Loop: Header=BB0_2 Depth=1
	s_wait_alu 0xfffe
	s_or_b32 exec_lo, exec_lo, s2
	s_load_b64 s[22:23], s[14:15], 0x0
	s_delay_alu instid0(VALU_DEP_1)
	v_mul_lo_u32 v4, v8, s20
	v_mul_lo_u32 v11, v7, s21
	v_mad_co_u64_u32 v[9:10], null, v7, s20, 0
	s_add_nc_u64 s[16:17], s[16:17], 1
	s_add_nc_u64 s[14:15], s[14:15], 8
	s_wait_alu 0xfffe
	v_cmp_ge_u64_e64 s2, s[16:17], s[6:7]
	s_add_nc_u64 s[18:19], s[18:19], 8
	s_delay_alu instid0(VALU_DEP_2) | instskip(NEXT) | instid1(VALU_DEP_3)
	v_add3_u32 v4, v10, v11, v4
	v_sub_co_u32 v5, vcc_lo, v5, v9
	s_wait_alu 0xfffd
	s_delay_alu instid0(VALU_DEP_2) | instskip(SKIP_3) | instid1(VALU_DEP_2)
	v_sub_co_ci_u32_e32 v4, vcc_lo, v6, v4, vcc_lo
	s_and_b32 vcc_lo, exec_lo, s2
	s_wait_kmcnt 0x0
	v_mul_lo_u32 v6, s23, v5
	v_mul_lo_u32 v4, s22, v4
	v_mad_co_u64_u32 v[1:2], null, s22, v5, v[1:2]
	s_delay_alu instid0(VALU_DEP_1)
	v_add3_u32 v2, v6, v2, v4
	s_wait_alu 0xfffe
	s_cbranch_vccnz .LBB0_9
; %bb.7:                                ;   in Loop: Header=BB0_2 Depth=1
	v_dual_mov_b32 v5, v7 :: v_dual_mov_b32 v6, v8
	s_branch .LBB0_2
.LBB0_8:
	v_dual_mov_b32 v8, v6 :: v_dual_mov_b32 v7, v5
.LBB0_9:
	s_lshl_b64 s[2:3], s[6:7], 3
	v_mul_hi_u32 v3, 0x3333334, v0
	s_wait_alu 0xfffe
	s_add_nc_u64 s[2:3], s[12:13], s[2:3]
	s_load_b64 s[0:1], s[0:1], 0x20
	s_load_b64 s[2:3], s[2:3], 0x0
	s_delay_alu instid0(VALU_DEP_1) | instskip(NEXT) | instid1(VALU_DEP_1)
	v_mul_u32_u24_e32 v3, 0x50, v3
	v_sub_nc_u32_e32 v99, v0, v3
	s_delay_alu instid0(VALU_DEP_1)
	v_add_nc_u32_e32 v101, 0x50, v99
	v_add_nc_u32_e32 v100, 0xa0, v99
	;; [unrolled: 1-line block ×3, first 2 shown]
	s_wait_kmcnt 0x0
	v_cmp_gt_u64_e32 vcc_lo, s[0:1], v[7:8]
	v_mul_lo_u32 v3, s2, v8
	v_mul_lo_u32 v4, s3, v7
	v_mad_co_u64_u32 v[0:1], null, s2, v7, v[1:2]
	v_cmp_le_u64_e64 s0, s[0:1], v[7:8]
                                        ; implicit-def: $sgpr2
	s_delay_alu instid0(VALU_DEP_2) | instskip(NEXT) | instid1(VALU_DEP_2)
	v_add3_u32 v1, v4, v1, v3
	s_and_saveexec_b32 s1, s0
	s_wait_alu 0xfffe
	s_xor_b32 s0, exec_lo, s1
; %bb.10:
	v_add_nc_u32_e32 v101, 0x50, v99
	v_add_nc_u32_e32 v100, 0xa0, v99
	;; [unrolled: 1-line block ×3, first 2 shown]
	s_mov_b32 s2, 0
; %bb.11:
	s_wait_alu 0xfffe
	s_or_saveexec_b32 s1, s0
	v_lshlrev_b64_e32 v[78:79], 4, v[0:1]
	v_mov_b32_e32 v98, s2
                                        ; implicit-def: $vgpr2_vgpr3
                                        ; implicit-def: $vgpr14_vgpr15
                                        ; implicit-def: $vgpr10_vgpr11
                                        ; implicit-def: $vgpr22_vgpr23
                                        ; implicit-def: $vgpr18_vgpr19
                                        ; implicit-def: $vgpr30_vgpr31
                                        ; implicit-def: $vgpr26_vgpr27
                                        ; implicit-def: $vgpr46_vgpr47
                                        ; implicit-def: $vgpr42_vgpr43
                                        ; implicit-def: $vgpr54_vgpr55
                                        ; implicit-def: $vgpr50_vgpr51
                                        ; implicit-def: $vgpr62_vgpr63
                                        ; implicit-def: $vgpr58_vgpr59
                                        ; implicit-def: $vgpr38_vgpr39
                                        ; implicit-def: $vgpr34_vgpr35
                                        ; implicit-def: $vgpr6_vgpr7
	s_wait_alu 0xfffe
	s_xor_b32 exec_lo, exec_lo, s1
	s_cbranch_execz .LBB0_13
; %bb.12:
	v_mad_co_u64_u32 v[0:1], null, s8, v99, 0
	v_mad_co_u64_u32 v[2:3], null, s8, v101, 0
	;; [unrolled: 1-line block ×3, first 2 shown]
	v_add_co_u32 v58, s0, s10, v78
	s_wait_alu 0xf1ff
	v_add_co_ci_u32_e64 v59, s0, s11, v79, s0
	s_delay_alu instid0(VALU_DEP_4)
	v_mad_co_u64_u32 v[6:7], null, s9, v99, v[1:2]
	v_mad_co_u64_u32 v[7:8], null, s8, v102, 0
	v_mov_b32_e32 v1, v5
	v_mad_co_u64_u32 v[9:10], null, s9, v101, v[3:4]
	v_add_nc_u32_e32 v12, 0x190, v99
	v_add_nc_u32_e32 v23, 0x1e0, v99
	s_delay_alu instid0(VALU_DEP_4) | instskip(SKIP_1) | instid1(VALU_DEP_4)
	v_mad_co_u64_u32 v[10:11], null, s9, v100, v[1:2]
	v_mov_b32_e32 v1, v6
	v_mad_co_u64_u32 v[18:19], null, s8, v12, 0
	v_dual_mov_b32 v6, v8 :: v_dual_add_nc_u32 v11, 0x140, v99
	s_delay_alu instid0(VALU_DEP_3) | instskip(SKIP_2) | instid1(VALU_DEP_4)
	v_lshlrev_b64_e32 v[0:1], 4, v[0:1]
	v_mov_b32_e32 v5, v10
	v_mad_co_u64_u32 v[24:25], null, s8, v23, 0
	v_mad_co_u64_u32 v[16:17], null, s8, v11, 0
	v_mov_b32_e32 v3, v9
	v_mad_co_u64_u32 v[8:9], null, s9, v102, v[6:7]
	v_add_co_u32 v0, s0, v58, v0
	v_lshlrev_b64_e32 v[4:5], 4, v[4:5]
	v_mov_b32_e32 v6, v17
	v_lshlrev_b64_e32 v[2:3], 4, v[2:3]
	s_wait_alu 0xf1ff
	v_add_co_ci_u32_e64 v1, s0, v59, v1, s0
	v_lshlrev_b64_e32 v[7:8], 4, v[7:8]
	v_add_nc_u32_e32 v33, 0x2d0, v99
	v_or_b32_e32 v32, 0x280, v99
	v_add_co_u32 v2, s0, v58, v2
	s_wait_alu 0xf1ff
	v_add_co_ci_u32_e64 v3, s0, v59, v3, s0
	v_mad_co_u64_u32 v[9:10], null, s9, v11, v[6:7]
	v_add_co_u32 v10, s0, v58, v4
	v_mov_b32_e32 v4, v19
	s_wait_alu 0xf1ff
	v_add_co_ci_u32_e64 v11, s0, v59, v5, s0
	v_add_co_u32 v19, s0, v58, v7
	s_delay_alu instid0(VALU_DEP_3) | instskip(SKIP_4) | instid1(VALU_DEP_3)
	v_mad_co_u64_u32 v[21:22], null, s9, v12, v[4:5]
	v_add_nc_u32_e32 v22, 0x230, v99
	s_wait_alu 0xf1ff
	v_add_co_ci_u32_e64 v20, s0, v59, v8, s0
	v_mad_co_u64_u32 v[36:37], null, s8, v33, 0
	v_mad_co_u64_u32 v[26:27], null, s8, v22, 0
	v_mov_b32_e32 v17, v9
	s_clause 0x3
	global_load_b128 v[4:7], v[0:1], off
	global_load_b128 v[0:3], v[2:3], off
	;; [unrolled: 1-line block ×4, first 2 shown]
	v_dual_mov_b32 v20, v25 :: v_dual_mov_b32 v19, v21
	v_add_nc_u32_e32 v44, 0x320, v99
	v_mad_co_u64_u32 v[28:29], null, s8, v32, 0
	s_delay_alu instid0(VALU_DEP_3) | instskip(SKIP_2) | instid1(VALU_DEP_4)
	v_mad_co_u64_u32 v[20:21], null, s9, v23, v[20:21]
	v_dual_mov_b32 v21, v27 :: v_dual_add_nc_u32 v46, 0x370, v99
	v_lshlrev_b64_e32 v[18:19], 4, v[18:19]
	v_dual_mov_b32 v27, v29 :: v_dual_add_nc_u32 v54, 0x460, v99
	s_delay_alu instid0(VALU_DEP_3) | instskip(SKIP_2) | instid1(VALU_DEP_4)
	v_mad_co_u64_u32 v[30:31], null, s9, v22, v[21:22]
	v_mov_b32_e32 v25, v20
	v_mad_co_u64_u32 v[40:41], null, s8, v44, 0
	v_mad_co_u64_u32 v[31:32], null, s9, v32, v[27:28]
	s_delay_alu instid0(VALU_DEP_3) | instskip(SKIP_3) | instid1(VALU_DEP_3)
	v_lshlrev_b64_e32 v[24:25], 4, v[24:25]
	v_dual_mov_b32 v27, v30 :: v_dual_mov_b32 v30, v37
	v_lshlrev_b64_e32 v[16:17], 4, v[16:17]
	v_mad_co_u64_u32 v[42:43], null, s8, v46, 0
	v_lshlrev_b64_e32 v[26:27], 4, v[26:27]
	v_mov_b32_e32 v29, v31
	v_mad_co_u64_u32 v[37:38], null, s9, v33, v[30:31]
	v_add_co_u32 v16, s0, v58, v16
	s_wait_alu 0xf1ff
	v_add_co_ci_u32_e64 v17, s0, v59, v17, s0
	v_add_co_u32 v18, s0, v58, v18
	s_wait_alu 0xf1ff
	v_add_co_ci_u32_e64 v19, s0, v59, v19, s0
	;; [unrolled: 3-line block ×4, first 2 shown]
	s_clause 0x1
	global_load_b128 v[20:23], v[16:17], off
	global_load_b128 v[16:19], v[18:19], off
	v_lshlrev_b64_e32 v[38:39], 4, v[28:29]
	s_clause 0x1
	global_load_b128 v[32:35], v[24:25], off
	global_load_b128 v[28:31], v[26:27], off
	v_dual_mov_b32 v26, v41 :: v_dual_add_nc_u32 v49, 0x3c0, v99
	v_dual_mov_b32 v98, v99 :: v_dual_add_nc_u32 v51, 0x410, v99
	v_add_nc_u32_e32 v55, 0x4b0, v99
	s_delay_alu instid0(VALU_DEP_3)
	v_mad_co_u64_u32 v[26:27], null, s9, v44, v[26:27]
	v_mov_b32_e32 v27, v43
	v_mad_co_u64_u32 v[44:45], null, s8, v49, 0
	v_lshlrev_b64_e32 v[36:37], 4, v[36:37]
	v_add_co_u32 v24, s0, v58, v38
	v_mov_b32_e32 v41, v26
	s_wait_alu 0xf1ff
	v_add_co_ci_u32_e64 v25, s0, v59, v39, s0
	s_delay_alu instid0(VALU_DEP_4) | instskip(NEXT) | instid1(VALU_DEP_3)
	v_add_co_u32 v36, s0, v58, v36
	v_lshlrev_b64_e32 v[40:41], 4, v[40:41]
	s_wait_alu 0xf1ff
	v_add_co_ci_u32_e64 v37, s0, v59, v37, s0
	s_delay_alu instid0(VALU_DEP_2) | instskip(SKIP_1) | instid1(VALU_DEP_3)
	v_add_co_u32 v40, s0, v58, v40
	s_wait_alu 0xf1ff
	v_add_co_ci_u32_e64 v41, s0, v59, v41, s0
	s_wait_loadcnt 0x0
	v_mad_co_u64_u32 v[46:47], null, s9, v46, v[27:28]
	v_mad_co_u64_u32 v[47:48], null, s8, v51, 0
	s_clause 0x1
	global_load_b128 v[24:27], v[24:25], off
	global_load_b128 v[36:39], v[36:37], off
	v_mov_b32_e32 v43, v46
	v_mad_co_u64_u32 v[45:46], null, s9, v49, v[45:46]
	v_mov_b32_e32 v46, v48
	v_mad_co_u64_u32 v[49:50], null, s8, v54, 0
	s_delay_alu instid0(VALU_DEP_4) | instskip(NEXT) | instid1(VALU_DEP_3)
	v_lshlrev_b64_e32 v[42:43], 4, v[42:43]
	v_mad_co_u64_u32 v[51:52], null, s9, v51, v[46:47]
	v_mad_co_u64_u32 v[52:53], null, s8, v55, 0
	s_delay_alu instid0(VALU_DEP_4) | instskip(SKIP_3) | instid1(VALU_DEP_4)
	v_mov_b32_e32 v46, v50
	v_lshlrev_b64_e32 v[44:45], 4, v[44:45]
	v_add_co_u32 v42, s0, v58, v42
	v_mov_b32_e32 v48, v51
	v_mad_co_u64_u32 v[50:51], null, s9, v54, v[46:47]
	v_mov_b32_e32 v46, v53
	s_wait_alu 0xf1ff
	v_add_co_ci_u32_e64 v43, s0, v59, v43, s0
	s_delay_alu instid0(VALU_DEP_2)
	v_mad_co_u64_u32 v[53:54], null, s9, v55, v[46:47]
	v_lshlrev_b64_e32 v[46:47], 4, v[47:48]
	v_add_co_u32 v54, s0, v58, v44
	s_wait_alu 0xf1ff
	v_add_co_ci_u32_e64 v55, s0, v59, v45, s0
	v_lshlrev_b64_e32 v[44:45], 4, v[49:50]
	s_delay_alu instid0(VALU_DEP_4) | instskip(SKIP_3) | instid1(VALU_DEP_4)
	v_add_co_u32 v48, s0, v58, v46
	s_wait_alu 0xf1ff
	v_add_co_ci_u32_e64 v49, s0, v59, v47, s0
	v_lshlrev_b64_e32 v[46:47], 4, v[52:53]
	v_add_co_u32 v56, s0, v58, v44
	s_wait_alu 0xf1ff
	v_add_co_ci_u32_e64 v57, s0, v59, v45, s0
	s_delay_alu instid0(VALU_DEP_3)
	v_add_co_u32 v58, s0, v58, v46
	s_wait_alu 0xf1ff
	v_add_co_ci_u32_e64 v59, s0, v59, v47, s0
	s_clause 0x5
	global_load_b128 v[44:47], v[40:41], off
	global_load_b128 v[40:43], v[42:43], off
	;; [unrolled: 1-line block ×6, first 2 shown]
.LBB0_13:
	s_or_b32 exec_lo, exec_lo, s1
	s_wait_loadcnt 0x7
	v_add_f64_e64 v[64:65], v[4:5], -v[24:25]
	s_wait_loadcnt 0x3
	v_add_f64_e64 v[24:25], v[22:23], -v[54:55]
	v_add_f64_e64 v[44:45], v[12:13], -v[44:45]
	s_wait_loadcnt 0x1
	v_add_f64_e64 v[54:55], v[34:35], -v[62:63]
	v_add_f64_e64 v[36:37], v[0:1], -v[36:37]
	;; [unrolled: 1-line block ×4, first 2 shown]
	s_wait_loadcnt 0x0
	v_add_f64_e64 v[58:59], v[30:31], -v[58:59]
	v_add_f64_e64 v[40:41], v[20:21], -v[52:53]
	;; [unrolled: 1-line block ×8, first 2 shown]
	s_mov_b32 s0, 0x667f3bcd
	s_mov_b32 s1, 0x3fe6a09e
	;; [unrolled: 1-line block ×3, first 2 shown]
	s_wait_alu 0xfffe
	s_mov_b32 s16, s0
	s_mov_b32 s14, 0xa6aea964
	;; [unrolled: 1-line block ×6, first 2 shown]
	s_wait_alu 0xfffe
	s_mov_b32 s12, s2
	s_mov_b32 s7, 0xbfd87de2
	;; [unrolled: 1-line block ×3, first 2 shown]
	v_lshl_add_u32 v106, v99, 7, 0
	v_lshl_add_u32 v103, v101, 3, 0
	;; [unrolled: 1-line block ×3, first 2 shown]
	v_fma_f64 v[4:5], v[4:5], 2.0, -v[64:65]
	v_add_f64_e32 v[66:67], v[24:25], v[64:65]
	v_fma_f64 v[12:13], v[12:13], 2.0, -v[44:45]
	v_add_f64_e32 v[70:71], v[44:45], v[54:55]
	v_add_f64_e32 v[68:69], v[50:51], v[36:37]
	v_fma_f64 v[18:19], v[18:19], 2.0, -v[50:51]
	v_add_f64_e32 v[72:73], v[62:63], v[58:59]
	v_fma_f64 v[20:21], v[20:21], 2.0, -v[40:41]
	v_fma_f64 v[38:39], v[14:15], 2.0, -v[46:47]
	;; [unrolled: 1-line block ×6, first 2 shown]
	v_add_f64_e64 v[74:75], v[46:47], -v[52:53]
	v_add_f64_e64 v[54:55], v[60:61], -v[48:49]
	;; [unrolled: 1-line block ×3, first 2 shown]
	v_fma_f64 v[52:53], v[8:9], 2.0, -v[62:63]
	v_fma_f64 v[28:29], v[28:29], 2.0, -v[56:57]
	v_fma_f64 v[10:11], v[10:11], 2.0, -v[42:43]
	v_fma_f64 v[30:31], v[30:31], 2.0, -v[58:59]
	v_fma_f64 v[2:3], v[2:3], 2.0, -v[60:61]
	v_fma_f64 v[56:57], v[64:65], 2.0, -v[66:67]
	v_fma_f64 v[76:77], v[44:45], 2.0, -v[70:71]
	v_fma_f64 v[36:37], v[36:37], 2.0, -v[68:69]
	v_fma_f64 v[62:63], v[62:63], 2.0, -v[72:73]
	v_add_f64_e64 v[20:21], v[4:5], -v[20:21]
	v_fma_f64 v[50:51], v[72:73], s[0:1], v[68:69]
	v_add_f64_e64 v[0:1], v[12:13], -v[14:15]
	v_add_f64_e64 v[8:9], v[38:39], -v[32:33]
	;; [unrolled: 1-line block ×3, first 2 shown]
	v_fma_f64 v[80:81], v[46:47], 2.0, -v[74:75]
	v_fma_f64 v[14:15], v[60:61], 2.0, -v[54:55]
	v_fma_f64 v[32:33], v[42:43], 2.0, -v[48:49]
	v_fma_f64 v[42:43], v[70:71], s[0:1], v[66:67]
	v_add_f64_e64 v[44:45], v[52:53], -v[28:29]
	v_fma_f64 v[60:61], v[48:49], s[0:1], v[54:55]
	v_add_f64_e64 v[30:31], v[10:11], -v[30:31]
	v_add_f64_e64 v[18:19], v[2:3], -v[18:19]
	v_mul_f64_e32 v[94:95], s[0:1], v[74:75]
	v_fma_f64 v[28:29], v[76:77], s[16:17], v[56:57]
	v_fma_f64 v[46:47], v[62:63], s[16:17], v[36:37]
	v_fma_f64 v[4:5], v[4:5], 2.0, -v[20:21]
	v_fma_f64 v[12:13], v[12:13], 2.0, -v[0:1]
	v_add_f64_e32 v[64:65], v[8:9], v[20:21]
	v_fma_f64 v[34:35], v[34:35], 2.0, -v[16:17]
	v_mul_f64_e32 v[96:97], s[0:1], v[80:81]
	v_fma_f64 v[82:83], v[32:33], s[16:17], v[14:15]
	v_fma_f64 v[84:85], v[74:75], s[0:1], v[42:43]
	v_fma_f64 v[86:87], v[52:53], 2.0, -v[44:45]
	v_fma_f64 v[42:43], v[48:49], s[0:1], v[50:51]
	v_add_f64_e32 v[88:89], v[30:31], v[16:17]
	v_fma_f64 v[58:59], v[2:3], 2.0, -v[18:19]
	v_fma_f64 v[2:3], v[10:11], 2.0, -v[30:31]
	v_add_f64_e64 v[107:108], v[18:19], -v[44:45]
	v_fma_f64 v[44:45], v[72:73], s[16:17], v[60:61]
	v_fma_f64 v[90:91], v[80:81], s[0:1], v[28:29]
	;; [unrolled: 1-line block ×3, first 2 shown]
	v_add_f64_e64 v[32:33], v[4:5], -v[12:13]
	v_fma_f64 v[72:73], v[20:21], 2.0, -v[64:65]
	v_fma_f64 v[52:53], v[62:63], s[16:17], v[82:83]
	v_fma_f64 v[82:83], v[66:67], 2.0, -v[84:85]
	v_add_f64_e64 v[46:47], v[34:35], -v[86:87]
	v_fma_f64 v[50:51], v[68:69], 2.0, -v[42:43]
	v_fma_f64 v[86:87], v[16:17], 2.0, -v[88:89]
	v_fma_f64 v[10:11], v[88:89], s[0:1], v[64:65]
	v_add_f64_e64 v[60:61], v[58:59], -v[2:3]
	v_fma_f64 v[16:17], v[42:43], s[12:13], v[84:85]
	v_fma_f64 v[109:110], v[18:19], 2.0, -v[107:108]
	v_fma_f64 v[54:55], v[54:55], 2.0, -v[44:45]
	;; [unrolled: 1-line block ×4, first 2 shown]
	v_fma_f64 v[12:13], v[28:29], s[14:15], v[90:91]
	v_fma_f64 v[62:63], v[4:5], 2.0, -v[32:33]
	v_fma_f64 v[56:57], v[14:15], 2.0, -v[52:53]
	;; [unrolled: 1-line block ×3, first 2 shown]
	s_wait_alu 0xfffe
	v_fma_f64 v[34:35], v[50:51], s[6:7], v[82:83]
	v_fma_f64 v[20:21], v[86:87], s[16:17], v[72:73]
	;; [unrolled: 1-line block ×3, first 2 shown]
	v_add_f64_e32 v[10:11], v[60:61], v[32:33]
	v_fma_f64 v[4:5], v[44:45], s[14:15], v[16:17]
	v_mul_f64_e32 v[74:75], s[0:1], v[86:87]
	v_mul_f64_e32 v[80:81], s[0:1], v[109:110]
	v_fma_f64 v[30:31], v[48:49], s[2:3], v[92:93]
	v_fma_f64 v[12:13], v[52:53], s[12:13], v[12:13]
	v_add_f64_e64 v[14:15], v[62:63], -v[18:19]
	v_fma_f64 v[18:19], v[109:110], s[0:1], v[20:21]
	v_fma_f64 v[20:21], v[54:55], s[12:13], v[34:35]
	v_fma_f64 v[34:35], v[32:33], 2.0, -v[10:11]
	v_fma_f64 v[32:33], v[84:85], 2.0, -v[4:5]
	v_fma_f64 v[16:17], v[56:57], s[14:15], v[30:31]
	v_fma_f64 v[36:37], v[90:91], 2.0, -v[12:13]
	v_fma_f64 v[30:31], v[64:65], 2.0, -v[2:3]
	v_mul_f64_e32 v[90:91], s[0:1], v[70:71]
	v_fma_f64 v[62:63], v[62:63], 2.0, -v[14:15]
	v_fma_f64 v[66:67], v[72:73], 2.0, -v[18:19]
	;; [unrolled: 1-line block ×3, first 2 shown]
	v_mad_i32_i24 v72, 0xffffff88, v99, v106
	s_delay_alu instid0(VALU_DEP_1)
	v_add_nc_u32_e32 v73, 0x1000, v72
	v_add_nc_u32_e32 v82, 0x1400, v72
	;; [unrolled: 1-line block ×5, first 2 shown]
	v_fma_f64 v[64:65], v[92:93], 2.0, -v[16:17]
	v_mul_f64_e32 v[92:93], s[0:1], v[76:77]
	v_mul_f64_e32 v[76:77], s[0:1], v[88:89]
	v_mul_f64_e32 v[88:89], s[0:1], v[107:108]
	v_cmp_gt_u32_e64 s0, 16, v99
	ds_store_b128 v106, v[10:13] offset:96
	ds_store_b128 v106, v[2:5] offset:112
	;; [unrolled: 1-line block ×6, first 2 shown]
	ds_store_b128 v106, v[62:65]
	ds_store_b128 v106, v[66:69] offset:16
	global_wb scope:SCOPE_SE
	s_wait_dscnt 0x0
	s_barrier_signal -1
	s_barrier_wait -1
	global_inv scope:SCOPE_SE
	ds_load_2addr_stride64_b64 v[14:17], v72 offset1:4
	ds_load_2addr_b64 v[62:65], v73 offset1:80
	ds_load_2addr_b64 v[30:33], v82 offset0:32 offset1:128
	ds_load_b64 v[84:85], v103
	ds_load_b64 v[82:83], v104
	ds_load_b64 v[86:87], v72 offset:9472
	ds_load_2addr_b64 v[70:73], v105 offset1:80
	ds_load_2addr_b64 v[66:69], v111 offset0:80 offset1:160
	ds_load_2addr_b64 v[34:37], v112 offset0:80 offset1:160
	v_mul_i32_i24_e32 v2, 0xffffff88, v99
	v_lshl_add_u32 v105, v102, 3, 0
                                        ; implicit-def: $vgpr12_vgpr13
                                        ; implicit-def: $vgpr20_vgpr21
	s_delay_alu instid0(VALU_DEP_2)
	v_add_nc_u32_e32 v102, v106, v2
	s_and_saveexec_b32 s1, s0
	s_cbranch_execz .LBB0_15
; %bb.14:
	s_delay_alu instid0(VALU_DEP_1)
	v_add_nc_u32_e32 v2, 0x180, v102
	ds_load_b64 v[4:5], v105
	ds_load_2addr_stride64_b64 v[18:21], v2 offset0:7 offset1:11
	ds_load_2addr_stride64_b64 v[10:13], v2 offset0:15 offset1:19
.LBB0_15:
	s_wait_alu 0xfffe
	s_or_b32 exec_lo, exec_lo, s1
	v_add_f64_e64 v[2:3], v[6:7], -v[26:27]
	v_fma_f64 v[22:23], v[22:23], 2.0, -v[24:25]
	v_fma_f64 v[8:9], v[38:39], 2.0, -v[8:9]
	global_wb scope:SCOPE_SE
	s_wait_dscnt 0x0
	s_barrier_signal -1
	s_barrier_wait -1
	global_inv scope:SCOPE_SE
	v_add_f64_e64 v[26:27], v[2:3], -v[40:41]
	v_fma_f64 v[6:7], v[6:7], 2.0, -v[2:3]
	s_delay_alu instid0(VALU_DEP_2) | instskip(NEXT) | instid1(VALU_DEP_2)
	v_fma_f64 v[2:3], v[2:3], 2.0, -v[26:27]
	v_add_f64_e64 v[22:23], v[6:7], -v[22:23]
	v_add_f64_e32 v[40:41], v[26:27], v[94:95]
	s_delay_alu instid0(VALU_DEP_3) | instskip(NEXT) | instid1(VALU_DEP_3)
	v_add_f64_e64 v[24:25], v[2:3], -v[96:97]
	v_fma_f64 v[6:7], v[6:7], 2.0, -v[22:23]
	v_add_f64_e64 v[94:95], v[22:23], -v[0:1]
	s_delay_alu instid0(VALU_DEP_4) | instskip(NEXT) | instid1(VALU_DEP_4)
	v_add_f64_e64 v[90:91], v[40:41], -v[90:91]
	v_add_f64_e64 v[92:93], v[24:25], -v[92:93]
	s_delay_alu instid0(VALU_DEP_4) | instskip(NEXT) | instid1(VALU_DEP_4)
	v_add_f64_e64 v[38:39], v[6:7], -v[8:9]
	v_fma_f64 v[96:97], v[22:23], 2.0, -v[94:95]
	s_delay_alu instid0(VALU_DEP_4)
	v_fma_f64 v[109:110], v[26:27], 2.0, -v[90:91]
	v_add_f64_e32 v[0:1], v[88:89], v[94:95]
	v_fma_f64 v[24:25], v[44:45], s[12:13], v[90:91]
	v_fma_f64 v[22:23], v[58:59], 2.0, -v[60:61]
	v_add_nc_u32_e32 v58, 0x1800, v102
	v_fma_f64 v[107:108], v[2:3], 2.0, -v[92:93]
	v_fma_f64 v[2:3], v[52:53], s[14:15], v[92:93]
	v_fma_f64 v[52:53], v[6:7], 2.0, -v[38:39]
	v_add_f64_e64 v[26:27], v[96:97], -v[80:81]
	v_fma_f64 v[44:45], v[54:55], s[6:7], v[109:110]
	v_add_f64_e64 v[6:7], v[38:39], -v[46:47]
	v_add_f64_e64 v[0:1], v[0:1], -v[76:77]
	v_add_nc_u32_e32 v54, 0x1000, v102
	v_add_nc_u32_e32 v55, 0x1400, v102
	v_fma_f64 v[40:41], v[56:57], s[2:3], v[107:108]
	v_fma_f64 v[8:9], v[28:29], s[2:3], v[2:3]
	;; [unrolled: 1-line block ×3, first 2 shown]
	v_add_f64_e64 v[22:23], v[52:53], -v[22:23]
	v_add_f64_e64 v[26:27], v[26:27], -v[74:75]
	v_fma_f64 v[28:29], v[50:51], s[2:3], v[44:45]
	v_fma_f64 v[38:39], v[38:39], 2.0, -v[6:7]
	v_fma_f64 v[42:43], v[94:95], 2.0, -v[0:1]
	v_add_nc_u32_e32 v56, 0x2000, v102
	v_add_nc_u32_e32 v57, 0x800, v102
	v_fma_f64 v[24:25], v[48:49], s[6:7], v[40:41]
	v_fma_f64 v[40:41], v[92:93], 2.0, -v[8:9]
	v_fma_f64 v[44:45], v[90:91], 2.0, -v[2:3]
	;; [unrolled: 1-line block ×6, first 2 shown]
	ds_store_b128 v106, v[6:9] offset:96
	ds_store_b128 v106, v[0:3] offset:112
	ds_store_b128 v106, v[38:41] offset:32
	ds_store_b128 v106, v[42:45] offset:48
	ds_store_b128 v106, v[22:25] offset:64
	ds_store_b128 v106, v[26:29] offset:80
	ds_store_b128 v106, v[46:49]
	ds_store_b128 v106, v[50:53] offset:16
	global_wb scope:SCOPE_SE
	s_wait_dscnt 0x0
	s_barrier_signal -1
	s_barrier_wait -1
	global_inv scope:SCOPE_SE
	ds_load_2addr_stride64_b64 v[6:9], v102 offset1:4
	ds_load_2addr_b64 v[50:53], v54 offset1:80
	ds_load_2addr_b64 v[38:41], v55 offset0:32 offset1:128
	ds_load_2addr_b64 v[74:77], v56 offset1:80
	ds_load_2addr_b64 v[46:49], v57 offset0:80 offset1:160
	ds_load_2addr_b64 v[42:45], v58 offset0:80 offset1:160
	ds_load_b64 v[80:81], v103
	ds_load_b64 v[0:1], v104
	ds_load_b64 v[92:93], v102 offset:9472
                                        ; implicit-def: $vgpr24_vgpr25
                                        ; implicit-def: $vgpr28_vgpr29
	s_and_saveexec_b32 s1, s0
	s_cbranch_execz .LBB0_17
; %bb.16:
	v_add_nc_u32_e32 v22, 0x180, v102
	ds_load_b64 v[2:3], v105
	ds_load_2addr_stride64_b64 v[26:29], v22 offset0:7 offset1:11
	ds_load_2addr_stride64_b64 v[22:25], v22 offset0:15 offset1:19
.LBB0_17:
	s_wait_alu 0xfffe
	s_or_b32 exec_lo, exec_lo, s1
	v_and_b32_e32 v106, 15, v99
	s_mov_b32 s2, 0x134454ff
	s_mov_b32 s3, 0xbfee6f0e
	;; [unrolled: 1-line block ×3, first 2 shown]
	s_wait_alu 0xfffe
	s_mov_b32 s6, s2
	v_lshlrev_b32_e32 v88, 6, v106
	s_mov_b32 s12, 0x4755a5e
	s_mov_b32 s13, 0xbfe2cf23
	;; [unrolled: 1-line block ×3, first 2 shown]
	s_wait_alu 0xfffe
	s_mov_b32 s14, s12
	s_clause 0x3
	global_load_b128 v[58:61], v88, s[4:5] offset:16
	global_load_b128 v[54:57], v88, s[4:5] offset:32
	;; [unrolled: 1-line block ×3, first 2 shown]
	global_load_b128 v[94:97], v88, s[4:5]
	v_lshlrev_b32_e32 v88, 6, v99
	s_mov_b32 s16, 0x372fe950
	s_mov_b32 s17, 0x3fd3c6ef
	s_delay_alu instid0(VALU_DEP_1)
	v_and_b32_e32 v88, 0x3c0, v88
	s_clause 0x3
	global_load_b128 v[111:114], v88, s[4:5]
	global_load_b128 v[115:118], v88, s[4:5] offset:16
	global_load_b128 v[119:122], v88, s[4:5] offset:32
	;; [unrolled: 1-line block ×3, first 2 shown]
	global_wb scope:SCOPE_SE
	s_wait_loadcnt_dscnt 0x0
	s_barrier_signal -1
	s_barrier_wait -1
	global_inv scope:SCOPE_SE
	v_mul_f64_e32 v[88:89], v[50:51], v[60:61]
	v_mul_f64_e32 v[90:91], v[40:41], v[56:57]
	;; [unrolled: 1-line block ×16, first 2 shown]
	v_fma_f64 v[88:89], v[62:63], v[58:59], v[88:89]
	v_fma_f64 v[90:91], v[32:33], v[54:55], v[90:91]
	;; [unrolled: 1-line block ×4, first 2 shown]
	v_mul_f64_e32 v[127:128], v[72:73], v[109:110]
	v_fma_f64 v[72:73], v[16:17], v[94:95], v[131:132]
	v_mul_f64_e32 v[129:130], v[66:67], v[96:97]
	v_fma_f64 v[16:17], v[64:65], v[58:59], v[133:134]
	v_fma_f64 v[62:63], v[34:35], v[54:55], v[135:136]
	v_mul_f64_e32 v[131:132], v[64:65], v[60:61]
	v_mul_f64_e32 v[133:134], v[34:35], v[56:57]
	v_fma_f64 v[64:65], v[66:67], v[94:95], v[137:138]
	v_fma_f64 v[34:35], v[68:69], v[94:95], v[139:140]
	v_mul_f64_e32 v[96:97], v[68:69], v[96:97]
	v_mul_f64_e32 v[109:110], v[86:87], v[109:110]
	v_fma_f64 v[66:67], v[8:9], v[94:95], -v[141:142]
	v_fma_f64 v[8:9], v[74:75], v[107:108], -v[143:144]
	v_fma_f64 v[68:69], v[30:31], v[58:59], v[145:146]
	v_fma_f64 v[74:75], v[36:37], v[54:55], v[147:148]
	;; [unrolled: 1-line block ×3, first 2 shown]
	v_mul_f64_e32 v[137:138], v[30:31], v[60:61]
	v_mul_f64_e32 v[139:140], v[36:37], v[56:57]
	v_mul_f64_e32 v[141:142], v[26:27], v[113:114]
	v_mul_f64_e32 v[113:114], v[18:19], v[113:114]
	v_fma_f64 v[50:51], v[50:51], v[58:59], -v[151:152]
	v_fma_f64 v[36:37], v[40:41], v[54:55], -v[153:154]
	v_add_f64_e32 v[135:136], v[88:89], v[90:91]
	v_fma_f64 v[30:31], v[76:77], v[107:108], -v[127:128]
	v_add_f64_e32 v[76:77], v[72:73], v[70:71]
	v_fma_f64 v[56:57], v[46:47], v[94:95], -v[129:130]
	v_add_f64_e64 v[129:130], v[70:71], -v[90:91]
	v_add_f64_e32 v[127:128], v[16:17], v[62:63]
	v_fma_f64 v[60:61], v[52:53], v[58:59], -v[131:132]
	v_fma_f64 v[46:47], v[42:43], v[54:55], -v[133:134]
	v_add_f64_e32 v[42:43], v[64:65], v[32:33]
	v_mul_f64_e32 v[52:53], v[28:29], v[117:118]
	v_fma_f64 v[94:95], v[48:49], v[94:95], -v[96:97]
	v_fma_f64 v[48:49], v[92:93], v[107:108], -v[109:110]
	v_add_f64_e64 v[109:110], v[72:73], -v[88:89]
	v_add_f64_e64 v[131:132], v[88:89], -v[72:73]
	;; [unrolled: 1-line block ×3, first 2 shown]
	v_add_f64_e32 v[143:144], v[68:69], v[74:75]
	v_add_f64_e64 v[107:108], v[66:67], -v[8:9]
	v_add_f64_e32 v[145:146], v[34:35], v[86:87]
	v_fma_f64 v[96:97], v[38:39], v[58:59], -v[137:138]
	v_fma_f64 v[92:93], v[44:45], v[54:55], -v[139:140]
	v_fma_f64 v[40:41], v[18:19], v[111:112], v[141:142]
	v_fma_f64 v[38:39], v[26:27], v[111:112], -v[113:114]
	v_add_f64_e64 v[18:19], v[64:65], -v[16:17]
	v_add_f64_e64 v[26:27], v[32:33], -v[62:63]
	;; [unrolled: 1-line block ×7, first 2 shown]
	v_mul_f64_e32 v[117:118], v[20:21], v[117:118]
	v_add_f64_e64 v[147:148], v[74:75], -v[86:87]
	v_fma_f64 v[135:136], v[135:136], -0.5, v[14:15]
	v_fma_f64 v[76:77], v[76:77], -0.5, v[14:15]
	v_add_f64_e64 v[113:114], v[56:57], -v[30:31]
	v_add_f64_e32 v[14:15], v[14:15], v[72:73]
	v_fma_f64 v[127:128], v[127:128], -0.5, v[84:85]
	v_add_f64_e64 v[139:140], v[60:61], -v[46:47]
	v_fma_f64 v[141:142], v[42:43], -0.5, v[84:85]
	v_fma_f64 v[42:43], v[20:21], v[115:116], v[52:53]
	v_add_f64_e32 v[20:21], v[84:85], v[64:65]
	v_add_f64_e32 v[52:53], v[82:83], v[34:35]
	v_add_f64_e64 v[84:85], v[68:69], -v[34:35]
	v_add_f64_e32 v[109:110], v[109:110], v[129:130]
	v_add_f64_e64 v[129:130], v[94:95], -v[48:49]
	v_add_f64_e32 v[131:132], v[131:132], v[133:134]
	v_fma_f64 v[133:134], v[143:144], -0.5, v[82:83]
	v_fma_f64 v[82:83], v[145:146], -0.5, v[82:83]
	v_add_f64_e64 v[145:146], v[96:97], -v[92:93]
	v_add_f64_e32 v[18:19], v[18:19], v[26:27]
	v_add_f64_e32 v[54:55], v[44:45], v[54:55]
	;; [unrolled: 1-line block ×3, first 2 shown]
	v_fma_f64 v[143:144], v[107:108], s[2:3], v[135:136]
	v_fma_f64 v[135:136], v[107:108], s[6:7], v[135:136]
	;; [unrolled: 1-line block ×4, first 2 shown]
	v_add_f64_e32 v[14:15], v[14:15], v[88:89]
	v_fma_f64 v[44:45], v[113:114], s[2:3], v[127:128]
	v_fma_f64 v[127:128], v[113:114], s[6:7], v[127:128]
	;; [unrolled: 1-line block ×4, first 2 shown]
	v_add_f64_e32 v[20:21], v[20:21], v[16:17]
	v_add_f64_e32 v[52:53], v[52:53], v[68:69]
	;; [unrolled: 1-line block ×3, first 2 shown]
	v_fma_f64 v[147:148], v[129:130], s[2:3], v[133:134]
	v_fma_f64 v[133:134], v[129:130], s[6:7], v[133:134]
	;; [unrolled: 1-line block ×3, first 2 shown]
	s_wait_alu 0xfffe
	v_fma_f64 v[135:136], v[58:59], s[14:15], v[135:136]
	v_fma_f64 v[58:59], v[145:146], s[6:7], v[82:83]
	;; [unrolled: 1-line block ×5, first 2 shown]
	v_mul_f64_e32 v[76:77], v[22:23], v[121:122]
	v_fma_f64 v[149:150], v[139:140], s[12:13], v[44:45]
	v_mul_f64_e32 v[44:45], v[10:11], v[121:122]
	v_add_f64_e32 v[14:15], v[14:15], v[90:91]
	v_fma_f64 v[121:122], v[113:114], s[12:13], v[137:138]
	v_fma_f64 v[113:114], v[113:114], s[14:15], v[141:142]
	v_mul_f64_e32 v[137:138], v[24:25], v[125:126]
	v_add_f64_e32 v[20:21], v[20:21], v[62:63]
	v_mul_f64_e32 v[125:126], v[12:13], v[125:126]
	v_fma_f64 v[127:128], v[139:140], s[14:15], v[127:128]
	v_add_f64_e32 v[139:140], v[52:53], v[74:75]
	v_fma_f64 v[52:53], v[28:29], v[115:116], -v[117:118]
	v_fma_f64 v[141:142], v[145:146], s[12:13], v[147:148]
	v_fma_f64 v[147:148], v[129:130], s[12:13], v[58:59]
	;; [unrolled: 1-line block ×7, first 2 shown]
	v_fma_f64 v[44:45], v[22:23], v[119:120], -v[44:45]
	v_add_f64_e32 v[10:11], v[14:15], v[70:71]
	v_fma_f64 v[22:23], v[109:110], s[16:17], v[135:136]
	v_fma_f64 v[113:114], v[54:55], s[16:17], v[113:114]
	;; [unrolled: 1-line block ×3, first 2 shown]
	v_add_f64_e32 v[12:13], v[20:21], v[32:33]
	v_fma_f64 v[20:21], v[109:110], s[16:17], v[143:144]
	v_fma_f64 v[109:110], v[54:55], s[16:17], v[121:122]
	v_fma_f64 v[54:55], v[24:25], v[123:124], -v[125:126]
	v_fma_f64 v[107:108], v[18:19], s[16:17], v[149:150]
	v_fma_f64 v[18:19], v[18:19], s[16:17], v[127:128]
	v_add_f64_e32 v[14:15], v[139:140], v[86:87]
	v_fma_f64 v[115:116], v[111:112], s[16:17], v[141:142]
	v_lshrrev_b32_e32 v25, 4, v101
	v_lshrrev_b32_e32 v24, 4, v99
	s_delay_alu instid0(VALU_DEP_2) | instskip(NEXT) | instid1(VALU_DEP_2)
	v_mul_lo_u32 v25, 0x50, v25
	v_mul_u32_u24_e32 v24, 0x50, v24
	s_delay_alu instid0(VALU_DEP_1) | instskip(NEXT) | instid1(VALU_DEP_3)
	v_or_b32_e32 v24, v24, v106
	v_or_b32_e32 v25, v25, v106
	v_fma_f64 v[117:118], v[84:85], s[16:17], v[147:148]
	v_fma_f64 v[119:120], v[84:85], s[16:17], v[82:83]
	;; [unrolled: 1-line block ×3, first 2 shown]
	v_lshrrev_b32_e32 v82, 4, v100
	v_lshl_add_u32 v84, v24, 3, 0
	v_lshl_add_u32 v85, v25, 3, 0
	s_delay_alu instid0(VALU_DEP_3) | instskip(SKIP_1) | instid1(VALU_DEP_2)
	v_mul_lo_u32 v83, 0x50, v82
	v_lshl_add_u32 v82, v99, 3, 0
	v_or_b32_e32 v83, v83, v106
	s_delay_alu instid0(VALU_DEP_1)
	v_lshl_add_u32 v83, v83, 3, 0
	ds_store_2addr_b64 v84, v[10:11], v[20:21] offset1:16
	ds_store_2addr_b64 v84, v[26:27], v[28:29] offset0:32 offset1:48
	ds_store_b64 v84, v[22:23] offset:512
	ds_store_2addr_b64 v85, v[12:13], v[107:108] offset1:16
	ds_store_2addr_b64 v85, v[109:110], v[113:114] offset0:32 offset1:48
	ds_store_b64 v85, v[18:19] offset:512
	;; [unrolled: 3-line block ×3, first 2 shown]
	s_and_saveexec_b32 s1, s0
	s_cbranch_execz .LBB0_19
; %bb.18:
	v_add_f64_e32 v[10:11], v[40:41], v[76:77]
	v_add_f64_e32 v[12:13], v[42:43], v[58:59]
	v_add_f64_e64 v[14:15], v[38:39], -v[54:55]
	v_add_f64_e32 v[20:21], v[4:5], v[40:41]
	v_add_f64_e64 v[18:19], v[52:53], -v[44:45]
	v_add_f64_e64 v[22:23], v[58:59], -v[76:77]
	;; [unrolled: 1-line block ×4, first 2 shown]
	v_fma_f64 v[10:11], v[10:11], -0.5, v[4:5]
	v_fma_f64 v[4:5], v[12:13], -0.5, v[4:5]
	v_add_f64_e64 v[12:13], v[42:43], -v[40:41]
	v_add_f64_e32 v[20:21], v[20:21], v[42:43]
	s_delay_alu instid0(VALU_DEP_4) | instskip(NEXT) | instid1(VALU_DEP_4)
	v_fma_f64 v[28:29], v[18:19], s[2:3], v[10:11]
	v_fma_f64 v[100:101], v[14:15], s[2:3], v[4:5]
	;; [unrolled: 1-line block ×4, first 2 shown]
	v_add_f64_e32 v[12:13], v[12:13], v[22:23]
	v_add_f64_e32 v[22:23], v[24:25], v[26:27]
	;; [unrolled: 1-line block ×3, first 2 shown]
	v_fma_f64 v[24:25], v[14:15], s[14:15], v[28:29]
	v_fma_f64 v[26:27], v[18:19], s[12:13], v[100:101]
	;; [unrolled: 1-line block ×4, first 2 shown]
	v_add_f64_e32 v[14:15], v[20:21], v[76:77]
	v_fma_f64 v[18:19], v[12:13], s[16:17], v[24:25]
	v_fma_f64 v[20:21], v[22:23], s[16:17], v[26:27]
	;; [unrolled: 1-line block ×4, first 2 shown]
	v_add_nc_u32_e32 v12, 0x2000, v82
	ds_store_2addr_b64 v12, v[14:15], v[20:21] offset0:176 offset1:192
	ds_store_2addr_b64 v12, v[10:11], v[18:19] offset0:208 offset1:224
	ds_store_b64 v82, v[4:5] offset:10112
.LBB0_19:
	s_wait_alu 0xfffe
	s_or_b32 exec_lo, exec_lo, s1
	v_add_f64_e32 v[4:5], v[50:51], v[36:37]
	v_add_f64_e32 v[10:11], v[66:67], v[8:9]
	v_add_f64_e32 v[12:13], v[60:61], v[46:47]
	v_add_f64_e32 v[14:15], v[56:57], v[30:31]
	v_add_f64_e32 v[18:19], v[96:97], v[92:93]
	v_add_f64_e32 v[20:21], v[94:95], v[48:49]
	v_add_f64_e32 v[22:23], v[6:7], v[66:67]
	v_add_f64_e64 v[24:25], v[72:73], -v[70:71]
	v_add_f64_e32 v[28:29], v[80:81], v[56:57]
	v_add_f64_e64 v[26:27], v[88:89], -v[90:91]
	v_add_f64_e32 v[70:71], v[0:1], v[94:95]
	v_add_f64_e64 v[32:33], v[64:65], -v[32:33]
	v_add_f64_e64 v[64:65], v[50:51], -v[66:67]
	;; [unrolled: 1-line block ×5, first 2 shown]
	global_wb scope:SCOPE_SE
	s_wait_dscnt 0x0
	s_barrier_signal -1
	s_barrier_wait -1
	global_inv scope:SCOPE_SE
	v_fma_f64 v[4:5], v[4:5], -0.5, v[6:7]
	v_fma_f64 v[6:7], v[10:11], -0.5, v[6:7]
	;; [unrolled: 1-line block ×3, first 2 shown]
	v_add_f64_e64 v[10:11], v[16:17], -v[62:63]
	v_fma_f64 v[14:15], v[14:15], -0.5, v[80:81]
	v_add_f64_e64 v[16:17], v[34:35], -v[86:87]
	v_fma_f64 v[18:19], v[18:19], -0.5, v[0:1]
	;; [unrolled: 2-line block ×3, first 2 shown]
	v_add_f64_e64 v[20:21], v[66:67], -v[50:51]
	v_add_f64_e64 v[62:63], v[8:9], -v[36:37]
	;; [unrolled: 1-line block ×4, first 2 shown]
	v_add_f64_e32 v[22:23], v[22:23], v[50:51]
	v_add_f64_e32 v[28:29], v[28:29], v[60:61]
	v_add_f64_e64 v[66:67], v[36:37], -v[8:9]
	v_add_f64_e32 v[50:51], v[70:71], v[96:97]
	v_add_f64_e64 v[80:81], v[94:95], -v[96:97]
	v_add_f64_e64 v[74:75], v[46:47], -v[30:31]
	;; [unrolled: 1-line block ×3, first 2 shown]
	v_fma_f64 v[60:61], v[24:25], s[6:7], v[4:5]
	v_fma_f64 v[4:5], v[24:25], s[2:3], v[4:5]
	v_fma_f64 v[70:71], v[26:27], s[2:3], v[6:7]
	v_fma_f64 v[6:7], v[26:27], s[6:7], v[6:7]
	v_fma_f64 v[94:95], v[32:33], s[6:7], v[12:13]
	v_fma_f64 v[12:13], v[32:33], s[2:3], v[12:13]
	v_fma_f64 v[96:97], v[10:11], s[2:3], v[14:15]
	v_fma_f64 v[14:15], v[10:11], s[6:7], v[14:15]
	v_fma_f64 v[100:101], v[16:17], s[6:7], v[18:19]
	v_fma_f64 v[106:107], v[34:35], s[2:3], v[0:1]
	v_fma_f64 v[0:1], v[34:35], s[6:7], v[0:1]
	v_fma_f64 v[18:19], v[16:17], s[2:3], v[18:19]
	v_add_f64_e32 v[20:21], v[20:21], v[62:63]
	v_add_f64_e32 v[22:23], v[22:23], v[36:37]
	;; [unrolled: 1-line block ×9, first 2 shown]
	v_fma_f64 v[46:47], v[26:27], s[14:15], v[60:61]
	v_fma_f64 v[4:5], v[26:27], s[12:13], v[4:5]
	;; [unrolled: 1-line block ×12, first 2 shown]
	v_add_f64_e32 v[34:35], v[22:23], v[8:9]
	v_add_f64_e32 v[60:61], v[28:29], v[30:31]
	v_add_nc_u32_e32 v8, 0x800, v102
	v_add_f64_e32 v[36:37], v[36:37], v[48:49]
	v_add_nc_u32_e32 v9, 0x1000, v102
	v_fma_f64 v[46:47], v[20:21], s[16:17], v[46:47]
	v_fma_f64 v[48:49], v[20:21], s[16:17], v[4:5]
	;; [unrolled: 1-line block ×12, first 2 shown]
	v_add_nc_u32_e32 v12, 0x1400, v102
	v_add_nc_u32_e32 v16, 0x1800, v102
	;; [unrolled: 1-line block ×3, first 2 shown]
	ds_load_2addr_stride64_b64 v[4:7], v102 offset1:5
	ds_load_b64 v[28:29], v103
	ds_load_b64 v[30:31], v104
	;; [unrolled: 1-line block ×3, first 2 shown]
	ds_load_b64 v[32:33], v102 offset:9600
	ds_load_2addr_b64 v[24:27], v8 offset0:144 offset1:224
	ds_load_2addr_b64 v[8:11], v9 offset0:48 offset1:128
	;; [unrolled: 1-line block ×5, first 2 shown]
	global_wb scope:SCOPE_SE
	s_wait_dscnt 0x0
	s_barrier_signal -1
	s_barrier_wait -1
	global_inv scope:SCOPE_SE
	ds_store_2addr_b64 v84, v[34:35], v[46:47] offset1:16
	ds_store_2addr_b64 v84, v[70:71], v[62:63] offset0:32 offset1:48
	ds_store_b64 v84, v[48:49] offset:512
	ds_store_2addr_b64 v85, v[60:61], v[72:73] offset1:16
	ds_store_2addr_b64 v85, v[74:75], v[56:57] offset0:32 offset1:48
	ds_store_b64 v85, v[64:65] offset:512
	;; [unrolled: 3-line block ×3, first 2 shown]
	s_and_saveexec_b32 s1, s0
	s_cbranch_execz .LBB0_21
; %bb.20:
	v_add_f64_e32 v[34:35], v[52:53], v[44:45]
	v_add_f64_e32 v[36:37], v[38:39], v[54:55]
	;; [unrolled: 1-line block ×3, first 2 shown]
	v_add_f64_e64 v[40:41], v[40:41], -v[76:77]
	v_add_f64_e64 v[42:43], v[42:43], -v[58:59]
	s_mov_b32 s2, 0x134454ff
	s_mov_b32 s3, 0x3fee6f0e
	;; [unrolled: 1-line block ×3, first 2 shown]
	s_wait_alu 0xfffe
	s_mov_b32 s6, s2
	v_add_f64_e64 v[48:49], v[54:55], -v[44:45]
	v_add_f64_e64 v[50:51], v[44:45], -v[54:55]
	v_fma_f64 v[34:35], v[34:35], -0.5, v[2:3]
	v_fma_f64 v[2:3], v[36:37], -0.5, v[2:3]
	v_add_f64_e64 v[36:37], v[38:39], -v[52:53]
	v_add_f64_e64 v[38:39], v[52:53], -v[38:39]
	v_add_f64_e32 v[46:47], v[46:47], v[52:53]
	v_fma_f64 v[52:53], v[40:41], s[2:3], v[34:35]
	s_wait_alu 0xfffe
	v_fma_f64 v[56:57], v[42:43], s[6:7], v[2:3]
	v_fma_f64 v[2:3], v[42:43], s[2:3], v[2:3]
	;; [unrolled: 1-line block ×3, first 2 shown]
	s_mov_b32 s2, 0x4755a5e
	s_mov_b32 s3, 0x3fe2cf23
	;; [unrolled: 1-line block ×3, first 2 shown]
	s_wait_alu 0xfffe
	s_mov_b32 s6, s2
	v_add_f64_e32 v[36:37], v[36:37], v[48:49]
	v_add_f64_e32 v[44:45], v[46:47], v[44:45]
	;; [unrolled: 1-line block ×3, first 2 shown]
	v_fma_f64 v[46:47], v[42:43], s[2:3], v[52:53]
	v_fma_f64 v[48:49], v[40:41], s[2:3], v[56:57]
	s_wait_alu 0xfffe
	v_fma_f64 v[2:3], v[40:41], s[6:7], v[2:3]
	v_fma_f64 v[34:35], v[42:43], s[6:7], v[34:35]
	s_mov_b32 s2, 0x372fe950
	s_mov_b32 s3, 0x3fd3c6ef
	v_add_f64_e32 v[40:41], v[44:45], v[54:55]
	s_wait_alu 0xfffe
	v_fma_f64 v[42:43], v[36:37], s[2:3], v[46:47]
	v_fma_f64 v[44:45], v[38:39], s[2:3], v[48:49]
	;; [unrolled: 1-line block ×4, first 2 shown]
	v_add_nc_u32_e32 v36, 0x2000, v82
	ds_store_2addr_b64 v36, v[40:41], v[42:43] offset0:176 offset1:192
	ds_store_2addr_b64 v36, v[44:45], v[2:3] offset0:208 offset1:224
	ds_store_b64 v82, v[34:35] offset:10112
.LBB0_21:
	s_wait_alu 0xfffe
	s_or_b32 exec_lo, exec_lo, s1
	global_wb scope:SCOPE_SE
	s_wait_dscnt 0x0
	s_barrier_signal -1
	s_barrier_wait -1
	global_inv scope:SCOPE_SE
	s_and_saveexec_b32 s0, vcc_lo
	s_cbranch_execz .LBB0_23
; %bb.22:
	v_mul_u32_u24_e32 v2, 15, v99
	v_add_nc_u32_e32 v101, 0x1400, v102
	v_add_nc_u32_e32 v108, 0x1800, v102
	;; [unrolled: 1-line block ×3, first 2 shown]
	s_mov_b32 s0, 0x667f3bcd
	v_lshlrev_b32_e32 v2, 4, v2
	s_mov_b32 s1, 0x3fe6a09e
	s_mov_b32 s7, 0xbfe6a09e
	s_wait_alu 0xfffe
	s_mov_b32 s6, s0
	s_mov_b32 s2, 0xcf328d46
	s_clause 0xe
	global_load_b128 v[34:37], v2, s[4:5] offset:1040
	global_load_b128 v[38:41], v2, s[4:5] offset:1056
	;; [unrolled: 1-line block ×15, first 2 shown]
	ds_load_b64 v[2:3], v104
	ds_load_b64 v[96:97], v105
	ds_load_2addr_b64 v[104:107], v101 offset0:80 offset1:160
	ds_load_b64 v[124:125], v103
	v_add_nc_u32_e32 v101, 0x800, v102
	v_add_nc_u32_e32 v103, 0x2000, v102
	ds_load_2addr_b64 v[108:111], v108 offset0:112 offset1:192
	ds_load_b64 v[128:129], v102 offset:9600
	ds_load_2addr_b64 v[112:115], v101 offset0:144 offset1:224
	ds_load_2addr_b64 v[116:119], v103 offset0:16 offset1:96
	;; [unrolled: 1-line block ×3, first 2 shown]
	s_mov_b32 s3, 0x3fed906b
	s_mov_b32 s4, 0xa6aea964
	;; [unrolled: 1-line block ×4, first 2 shown]
	s_wait_alu 0xfffe
	s_mov_b32 s14, s2
	s_mov_b32 s13, 0x3fd87de2
	;; [unrolled: 1-line block ×3, first 2 shown]
	s_wait_loadcnt 0xe
	v_mul_f64_e32 v[99:100], v[30:31], v[36:37]
	s_wait_dscnt 0x8
	v_mul_f64_e32 v[36:37], v[2:3], v[36:37]
	s_wait_loadcnt 0xd
	v_mul_f64_e32 v[126:127], v[0:1], v[40:41]
	s_wait_dscnt 0x7
	v_mul_f64_e32 v[40:41], v[96:97], v[40:41]
	;; [unrolled: 4-line block ×3, first 2 shown]
	s_wait_loadcnt 0xb
	v_mul_f64_e32 v[132:133], v[26:27], v[46:47]
	v_mul_f64_e32 v[26:27], v[26:27], v[48:49]
	s_wait_loadcnt 0xa
	v_mul_f64_e32 v[134:135], v[22:23], v[50:51]
	v_mul_f64_e32 v[136:137], v[22:23], v[52:53]
	s_wait_loadcnt_dscnt 0x904
	v_mul_f64_e32 v[138:139], v[108:109], v[56:57]
	v_mul_f64_e32 v[56:57], v[16:17], v[56:57]
	s_wait_loadcnt 0x8
	v_mul_f64_e32 v[140:141], v[28:29], v[60:61]
	s_wait_loadcnt 0x7
	;; [unrolled: 2-line block ×8, first 2 shown]
	v_mul_f64_e32 v[154:155], v[24:25], v[88:89]
	v_mul_f64_e32 v[24:25], v[24:25], v[90:91]
	s_wait_loadcnt 0x0
	v_mul_f64_e32 v[156:157], v[20:21], v[92:93]
	v_mul_f64_e32 v[32:33], v[32:33], v[82:83]
	s_wait_dscnt 0x0
	v_mul_f64_e32 v[64:65], v[122:123], v[64:65]
	v_fma_f64 v[22:23], v[2:3], v[34:35], -v[99:100]
	v_mul_f64_e32 v[99:100], v[8:9], v[76:77]
	v_fma_f64 v[8:9], v[30:31], v[34:35], v[36:37]
	v_mul_f64_e32 v[30:31], v[124:125], v[60:61]
	v_mul_f64_e32 v[34:35], v[104:105], v[86:87]
	;; [unrolled: 1-line block ×5, first 2 shown]
	v_fma_f64 v[18:19], v[0:1], v[38:39], v[40:41]
	ds_load_2addr_stride64_b64 v[0:3], v102 offset1:5
	v_fma_f64 v[6:7], v[96:97], v[38:39], -v[126:127]
	v_fma_f64 v[38:39], v[106:107], v[42:43], -v[130:131]
	v_fma_f64 v[40:41], v[14:15], v[42:43], v[44:45]
	v_fma_f64 v[20:21], v[114:115], v[48:49], v[132:133]
	v_fma_f64 v[14:15], v[114:115], v[46:47], -v[26:27]
	v_fma_f64 v[26:27], v[118:119], v[52:53], v[134:135]
	v_fma_f64 v[42:43], v[118:119], v[50:51], -v[136:137]
	;; [unrolled: 2-line block ×3, first 2 shown]
	v_fma_f64 v[48:49], v[124:125], v[58:59], -v[140:141]
	v_fma_f64 v[50:51], v[122:123], v[62:63], -v[142:143]
	v_fma_f64 v[52:53], v[110:111], v[72:73], v[146:147]
	v_fma_f64 v[54:55], v[120:121], v[76:77], v[148:149]
	v_fma_f64 v[56:57], v[128:129], v[82:83], v[150:151]
	v_fma_f64 v[72:73], v[112:113], v[90:91], v[154:155]
	v_fma_f64 v[76:77], v[116:117], v[94:95], v[156:157]
	v_fma_f64 v[32:33], v[128:129], v[80:81], -v[32:33]
	v_fma_f64 v[24:25], v[112:113], v[88:89], -v[24:25]
	v_fma_f64 v[10:11], v[10:11], v[62:63], v[64:65]
	s_wait_dscnt 0x0
	v_fma_f64 v[16:17], v[2:3], v[68:69], v[144:145]
	v_fma_f64 v[68:69], v[104:105], v[84:85], -v[152:153]
	v_mad_co_u64_u32 v[62:63], null, s8, v98, 0
	v_add_nc_u32_e32 v130, 0x460, v98
	v_add_nc_u32_e32 v129, 0x410, v98
	;; [unrolled: 1-line block ×5, first 2 shown]
	v_mad_co_u64_u32 v[94:95], null, s8, v130, 0
	v_fma_f64 v[74:75], v[120:121], v[74:75], -v[99:100]
	v_fma_f64 v[28:29], v[28:29], v[58:59], v[30:31]
	v_fma_f64 v[12:13], v[12:13], v[84:85], v[34:35]
	v_fma_f64 v[30:31], v[116:117], v[92:93], -v[36:37]
	v_add_nc_u32_e32 v120, 0x140, v98
	v_fma_f64 v[34:35], v[2:3], v[66:67], -v[86:87]
	v_fma_f64 v[2:3], v[110:111], v[70:71], -v[60:61]
	v_mad_co_u64_u32 v[92:93], null, s8, v129, 0
	v_add_f64_e64 v[38:39], v[22:23], -v[38:39]
	v_add_f64_e64 v[40:41], v[8:9], -v[40:41]
	v_mad_co_u64_u32 v[90:91], null, s8, v120, 0
	v_add_f64_e64 v[26:27], v[20:21], -v[26:27]
	v_add_f64_e64 v[42:43], v[14:15], -v[42:43]
	;; [unrolled: 1-line block ×4, first 2 shown]
	v_add_nc_u32_e32 v116, 0x50, v98
	v_add_f64_e64 v[36:37], v[0:1], -v[50:51]
	v_add_nc_u32_e32 v118, 0xa0, v98
	v_mad_co_u64_u32 v[88:89], null, s8, v119, 0
	s_delay_alu instid0(VALU_DEP_4) | instskip(SKIP_1) | instid1(VALU_DEP_4)
	v_mad_co_u64_u32 v[84:85], null, s8, v116, 0
	v_add_f64_e64 v[58:59], v[72:73], -v[76:77]
	v_mad_co_u64_u32 v[86:87], null, s8, v118, 0
	v_add_f64_e64 v[50:51], v[16:17], -v[52:53]
	v_add_f64_e64 v[52:53], v[54:55], -v[56:57]
	;; [unrolled: 1-line block ×4, first 2 shown]
	v_add_nc_u32_e32 v121, 0x190, v98
	v_or_b32_e32 v124, 0x280, v98
	v_add_nc_u32_e32 v125, 0x2d0, v98
	v_add_nc_u32_e32 v127, 0x370, v98
	v_mad_co_u64_u32 v[101:102], null, s8, v131, 0
	v_add_nc_u32_e32 v122, 0x1e0, v98
	v_add_f64_e64 v[32:33], v[74:75], -v[32:33]
	v_add_f64_e64 v[12:13], v[28:29], -v[12:13]
	;; [unrolled: 1-line block ×4, first 2 shown]
	v_add_co_u32 v2, vcc_lo, s10, v78
	s_wait_alu 0xfffd
	v_add_co_ci_u32_e32 v3, vcc_lo, s11, v79, vcc_lo
	v_fma_f64 v[8:9], v[8:9], 2.0, -v[40:41]
	v_fma_f64 v[22:23], v[22:23], 2.0, -v[38:39]
	v_add_f64_e64 v[66:67], v[38:39], -v[26:27]
	v_add_f64_e32 v[76:77], v[40:41], v[42:43]
	v_fma_f64 v[20:21], v[20:21], 2.0, -v[26:27]
	v_fma_f64 v[18:19], v[18:19], 2.0, -v[44:45]
	;; [unrolled: 1-line block ×6, first 2 shown]
	v_mad_co_u64_u32 v[72:73], null, s8, v127, 0
	v_add_f64_e64 v[64:65], v[36:37], -v[50:51]
	v_add_f64_e64 v[70:71], v[46:47], -v[52:53]
	v_add_f64_e64 v[68:69], v[56:57], -v[58:59]
	v_fma_f64 v[26:27], v[48:49], 2.0, -v[56:57]
	v_fma_f64 v[48:49], v[54:55], 2.0, -v[52:53]
	;; [unrolled: 1-line block ×4, first 2 shown]
	v_mad_co_u64_u32 v[54:55], null, s8, v123, 0
	v_mad_co_u64_u32 v[58:59], null, s8, v125, 0
	v_add_f64_e32 v[78:79], v[44:45], v[32:33]
	v_fma_f64 v[28:29], v[28:29], 2.0, -v[12:13]
	v_add_f64_e32 v[80:81], v[12:13], v[30:31]
	v_fma_f64 v[24:25], v[24:25], 2.0, -v[30:31]
	v_fma_f64 v[30:31], v[74:75], 2.0, -v[32:33]
	v_add_f64_e32 v[82:83], v[10:11], v[60:61]
	v_fma_f64 v[34:35], v[34:35], 2.0, -v[60:61]
	v_mad_co_u64_u32 v[32:33], null, s8, v121, 0
	v_fma_f64 v[38:39], v[38:39], 2.0, -v[66:67]
	v_fma_f64 v[40:41], v[40:41], 2.0, -v[76:77]
	v_add_f64_e64 v[20:21], v[8:9], -v[20:21]
	v_add_f64_e64 v[14:15], v[22:23], -v[14:15]
	v_fma_f64 v[36:37], v[36:37], 2.0, -v[64:65]
	v_fma_f64 v[46:47], v[46:47], 2.0, -v[70:71]
	;; [unrolled: 1-line block ×3, first 2 shown]
	v_fma_f64 v[96:97], v[66:67], s[0:1], v[64:65]
	v_add_f64_e64 v[48:49], v[18:19], -v[48:49]
	v_mad_co_u64_u32 v[105:106], null, s9, v98, v[63:64]
	v_add_f64_e64 v[16:17], v[4:5], -v[16:17]
	v_fma_f64 v[99:100], v[70:71], s[0:1], v[68:69]
	v_dual_mov_b32 v63, v85 :: v_dual_add_nc_u32 v126, 0x320, v98
	v_fma_f64 v[44:45], v[44:45], 2.0, -v[78:79]
	v_mov_b32_e32 v85, v87
	v_add_f64_e64 v[42:43], v[28:29], -v[42:43]
	v_fma_f64 v[12:13], v[12:13], 2.0, -v[80:81]
	v_add_f64_e64 v[24:25], v[26:27], -v[24:25]
	v_add_f64_e64 v[30:31], v[6:7], -v[30:31]
	v_fma_f64 v[10:11], v[10:11], 2.0, -v[82:83]
	v_add_f64_e64 v[34:35], v[0:1], -v[34:35]
	v_fma_f64 v[103:104], v[78:79], s[0:1], v[80:81]
	v_fma_f64 v[114:115], v[76:77], s[0:1], v[82:83]
	v_mov_b32_e32 v87, v89
	v_mov_b32_e32 v89, v91
	v_mad_co_u64_u32 v[116:117], null, s9, v116, v[63:64]
	v_mov_b32_e32 v63, v105
	v_fma_f64 v[8:9], v[8:9], 2.0, -v[20:21]
	v_add_nc_u32_e32 v128, 0x3c0, v98
	v_fma_f64 v[22:23], v[22:23], 2.0, -v[14:15]
	v_mad_co_u64_u32 v[56:57], null, s8, v124, 0
	v_mad_co_u64_u32 v[60:61], null, s8, v126, 0
	v_mov_b32_e32 v91, v93
	v_mad_co_u64_u32 v[117:118], null, s9, v118, v[85:86]
	v_mov_b32_e32 v85, v116
	v_mad_co_u64_u32 v[74:75], null, s8, v128, 0
	v_fma_f64 v[106:107], v[38:39], s[6:7], v[36:37]
	v_fma_f64 v[108:109], v[46:47], s[6:7], v[50:51]
	;; [unrolled: 1-line block ×3, first 2 shown]
	v_fma_f64 v[18:19], v[18:19], 2.0, -v[48:49]
	v_mov_b32_e32 v93, v95
	v_mov_b32_e32 v95, v102
	v_fma_f64 v[4:5], v[4:5], 2.0, -v[16:17]
	v_fma_f64 v[78:79], v[78:79], s[6:7], v[99:100]
	v_mad_co_u64_u32 v[52:53], null, s8, v122, 0
	v_fma_f64 v[28:29], v[28:29], 2.0, -v[42:43]
	v_fma_f64 v[110:111], v[44:45], s[6:7], v[12:13]
	v_fma_f64 v[26:27], v[26:27], 2.0, -v[24:25]
	v_fma_f64 v[6:7], v[6:7], 2.0, -v[30:31]
	v_fma_f64 v[112:113], v[40:41], s[6:7], v[10:11]
	v_fma_f64 v[0:1], v[0:1], 2.0, -v[34:35]
	v_add_f64_e64 v[96:97], v[34:35], -v[20:21]
	v_add_f64_e64 v[20:21], v[24:25], -v[48:49]
	v_fma_f64 v[48:49], v[70:71], s[0:1], v[103:104]
	v_add_f64_e32 v[30:31], v[30:31], v[42:43]
	v_fma_f64 v[66:67], v[66:67], s[0:1], v[114:115]
	v_mad_co_u64_u32 v[102:103], null, s9, v121, v[33:34]
	v_mad_co_u64_u32 v[103:104], null, s9, v122, v[53:54]
	s_delay_alu instid0(VALU_DEP_2) | instskip(NEXT) | instid1(VALU_DEP_2)
	v_mov_b32_e32 v33, v102
	v_mov_b32_e32 v53, v103
	v_fma_f64 v[70:71], v[40:41], s[6:7], v[106:107]
	v_fma_f64 v[40:41], v[44:45], s[6:7], v[108:109]
	v_mad_co_u64_u32 v[106:107], null, s9, v123, v[55:56]
	v_mad_co_u64_u32 v[107:108], null, s9, v124, v[57:58]
	;; [unrolled: 1-line block ×3, first 2 shown]
	v_fma_f64 v[64:65], v[64:65], 2.0, -v[76:77]
	v_fma_f64 v[68:69], v[68:69], 2.0, -v[78:79]
	v_mov_b32_e32 v55, v106
	v_lshlrev_b64_e32 v[52:53], 4, v[52:53]
	v_add_f64_e64 v[18:19], v[28:29], -v[18:19]
	v_fma_f64 v[44:45], v[46:47], s[0:1], v[110:111]
	v_add_f64_e32 v[46:47], v[16:17], v[14:15]
	v_mad_co_u64_u32 v[109:110], null, s9, v126, v[61:62]
	v_fma_f64 v[98:99], v[38:39], s[0:1], v[112:113]
	v_mad_co_u64_u32 v[110:111], null, s9, v127, v[73:74]
	v_mad_co_u64_u32 v[111:112], null, s9, v128, v[75:76]
	v_mad_co_u64_u32 v[112:113], null, s9, v129, v[91:92]
	v_mad_co_u64_u32 v[14:15], null, s9, v119, v[87:88]
	v_add_f64_e64 v[113:114], v[0:1], -v[22:23]
	v_add_f64_e64 v[118:119], v[4:5], -v[8:9]
	v_add_f64_e64 v[22:23], v[26:27], -v[6:7]
	v_mad_co_u64_u32 v[38:39], null, s9, v120, v[89:90]
	v_fma_f64 v[120:121], v[34:35], 2.0, -v[96:97]
	v_fma_f64 v[34:35], v[80:81], 2.0, -v[48:49]
	v_fma_f64 v[24:25], v[24:25], 2.0, -v[20:21]
	v_fma_f64 v[42:43], v[42:43], 2.0, -v[30:31]
	v_fma_f64 v[82:83], v[82:83], 2.0, -v[66:67]
	v_mov_b32_e32 v87, v117
	v_mad_co_u64_u32 v[6:7], null, s9, v130, v[93:94]
	v_fma_f64 v[80:81], v[36:37], 2.0, -v[70:71]
	v_fma_f64 v[36:37], v[50:51], 2.0, -v[40:41]
	v_mad_co_u64_u32 v[7:8], null, s9, v131, v[95:96]
	v_mov_b32_e32 v89, v14
	v_mov_b32_e32 v57, v107
	;; [unrolled: 1-line block ×3, first 2 shown]
	v_fma_f64 v[14:15], v[20:21], s[0:1], v[96:97]
	v_mov_b32_e32 v61, v109
	v_mov_b32_e32 v73, v110
	;; [unrolled: 1-line block ×3, first 2 shown]
	v_fma_f64 v[28:29], v[28:29], 2.0, -v[18:19]
	v_fma_f64 v[50:51], v[12:13], 2.0, -v[44:45]
	;; [unrolled: 1-line block ×3, first 2 shown]
	v_mov_b32_e32 v93, v112
	v_mov_b32_e32 v95, v6
	v_fma_f64 v[122:123], v[10:11], 2.0, -v[98:99]
	v_fma_f64 v[10:11], v[78:79], s[2:3], v[76:77]
	v_mov_b32_e32 v102, v7
	v_lshlrev_b64_e32 v[6:7], 4, v[84:85]
	v_fma_f64 v[12:13], v[48:49], s[2:3], v[66:67]
	v_fma_f64 v[84:85], v[68:69], s[4:5], v[64:65]
	;; [unrolled: 1-line block ×3, first 2 shown]
	v_lshlrev_b64_e32 v[8:9], 4, v[62:63]
	v_mov_b32_e32 v91, v38
	v_fma_f64 v[0:1], v[0:1], 2.0, -v[113:114]
	v_fma_f64 v[107:108], v[4:5], 2.0, -v[118:119]
	;; [unrolled: 1-line block ×3, first 2 shown]
	s_wait_alu 0xfffe
	v_fma_f64 v[38:39], v[40:41], s[12:13], v[70:71]
	v_fma_f64 v[62:63], v[44:45], s[12:13], v[98:99]
	v_add_co_u32 v136, vcc_lo, v2, v8
	v_fma_f64 v[103:104], v[24:25], s[6:7], v[120:121]
	s_wait_alu 0xfffd
	v_add_co_ci_u32_e32 v137, vcc_lo, v3, v9, vcc_lo
	v_fma_f64 v[126:127], v[34:35], s[4:5], v[82:83]
	v_add_co_u32 v138, vcc_lo, v2, v6
	s_wait_alu 0xfffd
	v_add_co_ci_u32_e32 v139, vcc_lo, v3, v7, vcc_lo
	v_fma_f64 v[109:110], v[36:37], s[14:15], v[80:81]
	v_lshlrev_b64_e32 v[128:129], 4, v[32:33]
	v_lshlrev_b64_e32 v[86:87], 4, v[86:87]
	;; [unrolled: 1-line block ×10, first 2 shown]
	v_fma_f64 v[115:116], v[42:43], s[6:7], v[124:125]
	v_lshlrev_b64_e32 v[92:93], 4, v[92:93]
	v_lshlrev_b64_e32 v[94:95], 4, v[94:95]
	v_fma_f64 v[111:112], v[50:51], s[14:15], v[122:123]
	v_fma_f64 v[6:7], v[48:49], s[4:5], v[10:11]
	;; [unrolled: 1-line block ×3, first 2 shown]
	v_add_f64_e64 v[14:15], v[113:114], -v[18:19]
	v_fma_f64 v[4:5], v[78:79], s[12:13], v[12:13]
	v_add_f64_e32 v[12:13], v[118:119], v[22:23]
	v_fma_f64 v[22:23], v[34:35], s[14:15], v[84:85]
	v_fma_f64 v[8:9], v[20:21], s[0:1], v[16:17]
	v_lshlrev_b64_e32 v[100:101], 4, v[101:102]
	v_add_f64_e64 v[28:29], v[107:108], -v[28:29]
	v_add_f64_e64 v[30:31], v[0:1], -v[105:106]
	v_fma_f64 v[18:19], v[44:45], s[14:15], v[38:39]
	v_fma_f64 v[16:17], v[40:41], s[2:3], v[62:63]
	;; [unrolled: 1-line block ×4, first 2 shown]
	v_add_co_u32 v68, vcc_lo, v2, v86
	s_wait_alu 0xfffd
	v_add_co_ci_u32_e32 v69, vcc_lo, v3, v87, vcc_lo
	v_fma_f64 v[34:35], v[50:51], s[4:5], v[109:110]
	v_add_co_u32 v78, vcc_lo, v2, v88
	s_wait_alu 0xfffd
	v_add_co_ci_u32_e32 v79, vcc_lo, v3, v89, vcc_lo
	v_add_co_u32 v84, vcc_lo, v2, v90
	s_wait_alu 0xfffd
	v_add_co_ci_u32_e32 v85, vcc_lo, v3, v91, vcc_lo
	v_add_co_u32 v86, vcc_lo, v2, v128
	v_fma_f64 v[24:25], v[24:25], s[0:1], v[115:116]
	s_wait_alu 0xfffd
	v_add_co_ci_u32_e32 v87, vcc_lo, v3, v129, vcc_lo
	v_fma_f64 v[32:33], v[36:37], s[12:13], v[111:112]
	v_add_co_u32 v88, vcc_lo, v2, v52
	s_wait_alu 0xfffd
	v_add_co_ci_u32_e32 v89, vcc_lo, v3, v53, vcc_lo
	v_add_co_u32 v90, vcc_lo, v2, v54
	s_wait_alu 0xfffd
	v_add_co_ci_u32_e32 v91, vcc_lo, v3, v55, vcc_lo
	v_fma_f64 v[50:51], v[64:65], 2.0, -v[22:23]
	v_fma_f64 v[56:57], v[107:108], 2.0, -v[28:29]
	;; [unrolled: 1-line block ×13, first 2 shown]
	v_add_co_u32 v0, vcc_lo, v2, v130
	v_fma_f64 v[62:63], v[80:81], 2.0, -v[34:35]
	s_wait_alu 0xfffd
	v_add_co_ci_u32_e32 v1, vcc_lo, v3, v131, vcc_lo
	v_add_co_u32 v70, vcc_lo, v2, v132
	s_wait_alu 0xfffd
	v_add_co_ci_u32_e32 v71, vcc_lo, v3, v133, vcc_lo
	v_add_co_u32 v76, vcc_lo, v2, v134
	s_wait_alu 0xfffd
	v_add_co_ci_u32_e32 v77, vcc_lo, v3, v135, vcc_lo
	v_fma_f64 v[52:53], v[124:125], 2.0, -v[24:25]
	v_add_co_u32 v72, vcc_lo, v2, v72
	v_fma_f64 v[60:61], v[122:123], 2.0, -v[32:33]
	s_wait_alu 0xfffd
	v_add_co_ci_u32_e32 v73, vcc_lo, v3, v73, vcc_lo
	v_add_co_u32 v74, vcc_lo, v2, v74
	s_wait_alu 0xfffd
	v_add_co_ci_u32_e32 v75, vcc_lo, v3, v75, vcc_lo
	v_add_co_u32 v80, vcc_lo, v2, v92
	s_wait_alu 0xfffd
	v_add_co_ci_u32_e32 v81, vcc_lo, v3, v93, vcc_lo
	v_add_co_u32 v82, vcc_lo, v2, v94
	s_wait_alu 0xfffd
	v_add_co_ci_u32_e32 v83, vcc_lo, v3, v95, vcc_lo
	v_add_co_u32 v2, vcc_lo, v2, v100
	s_wait_alu 0xfffd
	v_add_co_ci_u32_e32 v3, vcc_lo, v3, v101, vcc_lo
	s_clause 0xf
	global_store_b128 v[136:137], v[56:59], off
	global_store_b128 v[138:139], v[60:63], off
	;; [unrolled: 1-line block ×16, first 2 shown]
.LBB0_23:
	s_nop 0
	s_sendmsg sendmsg(MSG_DEALLOC_VGPRS)
	s_endpgm
	.section	.rodata,"a",@progbits
	.p2align	6, 0x0
	.amdhsa_kernel fft_rtc_back_len1280_factors_16_5_16_wgs_80_tpt_80_halfLds_dp_ip_CI_sbrr_dirReg
		.amdhsa_group_segment_fixed_size 0
		.amdhsa_private_segment_fixed_size 0
		.amdhsa_kernarg_size 88
		.amdhsa_user_sgpr_count 2
		.amdhsa_user_sgpr_dispatch_ptr 0
		.amdhsa_user_sgpr_queue_ptr 0
		.amdhsa_user_sgpr_kernarg_segment_ptr 1
		.amdhsa_user_sgpr_dispatch_id 0
		.amdhsa_user_sgpr_private_segment_size 0
		.amdhsa_wavefront_size32 1
		.amdhsa_uses_dynamic_stack 0
		.amdhsa_enable_private_segment 0
		.amdhsa_system_sgpr_workgroup_id_x 1
		.amdhsa_system_sgpr_workgroup_id_y 0
		.amdhsa_system_sgpr_workgroup_id_z 0
		.amdhsa_system_sgpr_workgroup_info 0
		.amdhsa_system_vgpr_workitem_id 0
		.amdhsa_next_free_vgpr 158
		.amdhsa_next_free_sgpr 35
		.amdhsa_reserve_vcc 1
		.amdhsa_float_round_mode_32 0
		.amdhsa_float_round_mode_16_64 0
		.amdhsa_float_denorm_mode_32 3
		.amdhsa_float_denorm_mode_16_64 3
		.amdhsa_fp16_overflow 0
		.amdhsa_workgroup_processor_mode 1
		.amdhsa_memory_ordered 1
		.amdhsa_forward_progress 0
		.amdhsa_round_robin_scheduling 0
		.amdhsa_exception_fp_ieee_invalid_op 0
		.amdhsa_exception_fp_denorm_src 0
		.amdhsa_exception_fp_ieee_div_zero 0
		.amdhsa_exception_fp_ieee_overflow 0
		.amdhsa_exception_fp_ieee_underflow 0
		.amdhsa_exception_fp_ieee_inexact 0
		.amdhsa_exception_int_div_zero 0
	.end_amdhsa_kernel
	.text
.Lfunc_end0:
	.size	fft_rtc_back_len1280_factors_16_5_16_wgs_80_tpt_80_halfLds_dp_ip_CI_sbrr_dirReg, .Lfunc_end0-fft_rtc_back_len1280_factors_16_5_16_wgs_80_tpt_80_halfLds_dp_ip_CI_sbrr_dirReg
                                        ; -- End function
	.section	.AMDGPU.csdata,"",@progbits
; Kernel info:
; codeLenInByte = 10328
; NumSgprs: 37
; NumVgprs: 158
; ScratchSize: 0
; MemoryBound: 1
; FloatMode: 240
; IeeeMode: 1
; LDSByteSize: 0 bytes/workgroup (compile time only)
; SGPRBlocks: 4
; VGPRBlocks: 19
; NumSGPRsForWavesPerEU: 37
; NumVGPRsForWavesPerEU: 158
; Occupancy: 9
; WaveLimiterHint : 1
; COMPUTE_PGM_RSRC2:SCRATCH_EN: 0
; COMPUTE_PGM_RSRC2:USER_SGPR: 2
; COMPUTE_PGM_RSRC2:TRAP_HANDLER: 0
; COMPUTE_PGM_RSRC2:TGID_X_EN: 1
; COMPUTE_PGM_RSRC2:TGID_Y_EN: 0
; COMPUTE_PGM_RSRC2:TGID_Z_EN: 0
; COMPUTE_PGM_RSRC2:TIDIG_COMP_CNT: 0
	.text
	.p2alignl 7, 3214868480
	.fill 96, 4, 3214868480
	.type	__hip_cuid_f13982b83a2fee36,@object ; @__hip_cuid_f13982b83a2fee36
	.section	.bss,"aw",@nobits
	.globl	__hip_cuid_f13982b83a2fee36
__hip_cuid_f13982b83a2fee36:
	.byte	0                               ; 0x0
	.size	__hip_cuid_f13982b83a2fee36, 1

	.ident	"AMD clang version 19.0.0git (https://github.com/RadeonOpenCompute/llvm-project roc-6.4.0 25133 c7fe45cf4b819c5991fe208aaa96edf142730f1d)"
	.section	".note.GNU-stack","",@progbits
	.addrsig
	.addrsig_sym __hip_cuid_f13982b83a2fee36
	.amdgpu_metadata
---
amdhsa.kernels:
  - .args:
      - .actual_access:  read_only
        .address_space:  global
        .offset:         0
        .size:           8
        .value_kind:     global_buffer
      - .offset:         8
        .size:           8
        .value_kind:     by_value
      - .actual_access:  read_only
        .address_space:  global
        .offset:         16
        .size:           8
        .value_kind:     global_buffer
      - .actual_access:  read_only
        .address_space:  global
        .offset:         24
        .size:           8
        .value_kind:     global_buffer
      - .offset:         32
        .size:           8
        .value_kind:     by_value
      - .actual_access:  read_only
        .address_space:  global
        .offset:         40
        .size:           8
        .value_kind:     global_buffer
      - .actual_access:  read_only
        .address_space:  global
        .offset:         48
        .size:           8
        .value_kind:     global_buffer
      - .offset:         56
        .size:           4
        .value_kind:     by_value
      - .actual_access:  read_only
        .address_space:  global
        .offset:         64
        .size:           8
        .value_kind:     global_buffer
      - .actual_access:  read_only
        .address_space:  global
        .offset:         72
        .size:           8
        .value_kind:     global_buffer
      - .address_space:  global
        .offset:         80
        .size:           8
        .value_kind:     global_buffer
    .group_segment_fixed_size: 0
    .kernarg_segment_align: 8
    .kernarg_segment_size: 88
    .language:       OpenCL C
    .language_version:
      - 2
      - 0
    .max_flat_workgroup_size: 80
    .name:           fft_rtc_back_len1280_factors_16_5_16_wgs_80_tpt_80_halfLds_dp_ip_CI_sbrr_dirReg
    .private_segment_fixed_size: 0
    .sgpr_count:     37
    .sgpr_spill_count: 0
    .symbol:         fft_rtc_back_len1280_factors_16_5_16_wgs_80_tpt_80_halfLds_dp_ip_CI_sbrr_dirReg.kd
    .uniform_work_group_size: 1
    .uses_dynamic_stack: false
    .vgpr_count:     158
    .vgpr_spill_count: 0
    .wavefront_size: 32
    .workgroup_processor_mode: 1
amdhsa.target:   amdgcn-amd-amdhsa--gfx1201
amdhsa.version:
  - 1
  - 2
...

	.end_amdgpu_metadata
